;; amdgpu-corpus repo=ROCm/rocFFT kind=compiled arch=gfx906 opt=O3
	.text
	.amdgcn_target "amdgcn-amd-amdhsa--gfx906"
	.amdhsa_code_object_version 6
	.protected	fft_rtc_fwd_len1352_factors_2_13_13_4_wgs_52_tpt_52_halfLds_dp_ip_CI_unitstride_sbrr_dirReg ; -- Begin function fft_rtc_fwd_len1352_factors_2_13_13_4_wgs_52_tpt_52_halfLds_dp_ip_CI_unitstride_sbrr_dirReg
	.globl	fft_rtc_fwd_len1352_factors_2_13_13_4_wgs_52_tpt_52_halfLds_dp_ip_CI_unitstride_sbrr_dirReg
	.p2align	8
	.type	fft_rtc_fwd_len1352_factors_2_13_13_4_wgs_52_tpt_52_halfLds_dp_ip_CI_unitstride_sbrr_dirReg,@function
fft_rtc_fwd_len1352_factors_2_13_13_4_wgs_52_tpt_52_halfLds_dp_ip_CI_unitstride_sbrr_dirReg: ; @fft_rtc_fwd_len1352_factors_2_13_13_4_wgs_52_tpt_52_halfLds_dp_ip_CI_unitstride_sbrr_dirReg
; %bb.0:
	s_load_dwordx2 s[12:13], s[4:5], 0x50
	s_load_dwordx4 s[8:11], s[4:5], 0x0
	s_load_dwordx2 s[2:3], s[4:5], 0x18
	v_mul_u32_u24_e32 v1, 0x4ed, v0
	v_add_u32_sdwa v5, s6, v1 dst_sel:DWORD dst_unused:UNUSED_PAD src0_sel:DWORD src1_sel:WORD_1
	v_mov_b32_e32 v3, 0
	s_waitcnt lgkmcnt(0)
	v_cmp_lt_u64_e64 s[0:1], s[10:11], 2
	v_mov_b32_e32 v1, 0
	v_mov_b32_e32 v6, v3
	s_and_b64 vcc, exec, s[0:1]
	v_mov_b32_e32 v2, 0
	s_cbranch_vccnz .LBB0_8
; %bb.1:
	s_load_dwordx2 s[0:1], s[4:5], 0x10
	s_add_u32 s6, s2, 8
	s_addc_u32 s7, s3, 0
	v_mov_b32_e32 v1, 0
	v_mov_b32_e32 v2, 0
	s_waitcnt lgkmcnt(0)
	s_add_u32 s14, s0, 8
	s_addc_u32 s15, s1, 0
	s_mov_b64 s[16:17], 1
.LBB0_2:                                ; =>This Inner Loop Header: Depth=1
	s_load_dwordx2 s[18:19], s[14:15], 0x0
                                        ; implicit-def: $vgpr7_vgpr8
	s_waitcnt lgkmcnt(0)
	v_or_b32_e32 v4, s19, v6
	v_cmp_ne_u64_e32 vcc, 0, v[3:4]
	s_and_saveexec_b64 s[0:1], vcc
	s_xor_b64 s[20:21], exec, s[0:1]
	s_cbranch_execz .LBB0_4
; %bb.3:                                ;   in Loop: Header=BB0_2 Depth=1
	v_cvt_f32_u32_e32 v4, s18
	v_cvt_f32_u32_e32 v7, s19
	s_sub_u32 s0, 0, s18
	s_subb_u32 s1, 0, s19
	v_mac_f32_e32 v4, 0x4f800000, v7
	v_rcp_f32_e32 v4, v4
	v_mul_f32_e32 v4, 0x5f7ffffc, v4
	v_mul_f32_e32 v7, 0x2f800000, v4
	v_trunc_f32_e32 v7, v7
	v_mac_f32_e32 v4, 0xcf800000, v7
	v_cvt_u32_f32_e32 v7, v7
	v_cvt_u32_f32_e32 v4, v4
	v_mul_lo_u32 v8, s0, v7
	v_mul_hi_u32 v9, s0, v4
	v_mul_lo_u32 v11, s1, v4
	v_mul_lo_u32 v10, s0, v4
	v_add_u32_e32 v8, v9, v8
	v_add_u32_e32 v8, v8, v11
	v_mul_hi_u32 v9, v4, v10
	v_mul_lo_u32 v11, v4, v8
	v_mul_hi_u32 v13, v4, v8
	v_mul_hi_u32 v12, v7, v10
	v_mul_lo_u32 v10, v7, v10
	v_mul_hi_u32 v14, v7, v8
	v_add_co_u32_e32 v9, vcc, v9, v11
	v_addc_co_u32_e32 v11, vcc, 0, v13, vcc
	v_mul_lo_u32 v8, v7, v8
	v_add_co_u32_e32 v9, vcc, v9, v10
	v_addc_co_u32_e32 v9, vcc, v11, v12, vcc
	v_addc_co_u32_e32 v10, vcc, 0, v14, vcc
	v_add_co_u32_e32 v8, vcc, v9, v8
	v_addc_co_u32_e32 v9, vcc, 0, v10, vcc
	v_add_co_u32_e32 v4, vcc, v4, v8
	v_addc_co_u32_e32 v7, vcc, v7, v9, vcc
	v_mul_lo_u32 v8, s0, v7
	v_mul_hi_u32 v9, s0, v4
	v_mul_lo_u32 v10, s1, v4
	v_mul_lo_u32 v11, s0, v4
	v_add_u32_e32 v8, v9, v8
	v_add_u32_e32 v8, v8, v10
	v_mul_lo_u32 v12, v4, v8
	v_mul_hi_u32 v13, v4, v11
	v_mul_hi_u32 v14, v4, v8
	;; [unrolled: 1-line block ×3, first 2 shown]
	v_mul_lo_u32 v11, v7, v11
	v_mul_hi_u32 v9, v7, v8
	v_add_co_u32_e32 v12, vcc, v13, v12
	v_addc_co_u32_e32 v13, vcc, 0, v14, vcc
	v_mul_lo_u32 v8, v7, v8
	v_add_co_u32_e32 v11, vcc, v12, v11
	v_addc_co_u32_e32 v10, vcc, v13, v10, vcc
	v_addc_co_u32_e32 v9, vcc, 0, v9, vcc
	v_add_co_u32_e32 v8, vcc, v10, v8
	v_addc_co_u32_e32 v9, vcc, 0, v9, vcc
	v_add_co_u32_e32 v4, vcc, v4, v8
	v_addc_co_u32_e32 v9, vcc, v7, v9, vcc
	v_mad_u64_u32 v[7:8], s[0:1], v5, v9, 0
	v_mul_hi_u32 v10, v5, v4
	v_add_co_u32_e32 v11, vcc, v10, v7
	v_addc_co_u32_e32 v12, vcc, 0, v8, vcc
	v_mad_u64_u32 v[7:8], s[0:1], v6, v4, 0
	v_mad_u64_u32 v[9:10], s[0:1], v6, v9, 0
	v_add_co_u32_e32 v4, vcc, v11, v7
	v_addc_co_u32_e32 v4, vcc, v12, v8, vcc
	v_addc_co_u32_e32 v7, vcc, 0, v10, vcc
	v_add_co_u32_e32 v4, vcc, v4, v9
	v_addc_co_u32_e32 v9, vcc, 0, v7, vcc
	v_mul_lo_u32 v10, s19, v4
	v_mul_lo_u32 v11, s18, v9
	v_mad_u64_u32 v[7:8], s[0:1], s18, v4, 0
	v_add3_u32 v8, v8, v11, v10
	v_sub_u32_e32 v10, v6, v8
	v_mov_b32_e32 v11, s19
	v_sub_co_u32_e32 v7, vcc, v5, v7
	v_subb_co_u32_e64 v10, s[0:1], v10, v11, vcc
	v_subrev_co_u32_e64 v11, s[0:1], s18, v7
	v_subbrev_co_u32_e64 v10, s[0:1], 0, v10, s[0:1]
	v_cmp_le_u32_e64 s[0:1], s19, v10
	v_cndmask_b32_e64 v12, 0, -1, s[0:1]
	v_cmp_le_u32_e64 s[0:1], s18, v11
	v_cndmask_b32_e64 v11, 0, -1, s[0:1]
	v_cmp_eq_u32_e64 s[0:1], s19, v10
	v_cndmask_b32_e64 v10, v12, v11, s[0:1]
	v_add_co_u32_e64 v11, s[0:1], 2, v4
	v_addc_co_u32_e64 v12, s[0:1], 0, v9, s[0:1]
	v_add_co_u32_e64 v13, s[0:1], 1, v4
	v_addc_co_u32_e64 v14, s[0:1], 0, v9, s[0:1]
	v_subb_co_u32_e32 v8, vcc, v6, v8, vcc
	v_cmp_ne_u32_e64 s[0:1], 0, v10
	v_cmp_le_u32_e32 vcc, s19, v8
	v_cndmask_b32_e64 v10, v14, v12, s[0:1]
	v_cndmask_b32_e64 v12, 0, -1, vcc
	v_cmp_le_u32_e32 vcc, s18, v7
	v_cndmask_b32_e64 v7, 0, -1, vcc
	v_cmp_eq_u32_e32 vcc, s19, v8
	v_cndmask_b32_e32 v7, v12, v7, vcc
	v_cmp_ne_u32_e32 vcc, 0, v7
	v_cndmask_b32_e64 v7, v13, v11, s[0:1]
	v_cndmask_b32_e32 v8, v9, v10, vcc
	v_cndmask_b32_e32 v7, v4, v7, vcc
.LBB0_4:                                ;   in Loop: Header=BB0_2 Depth=1
	s_andn2_saveexec_b64 s[0:1], s[20:21]
	s_cbranch_execz .LBB0_6
; %bb.5:                                ;   in Loop: Header=BB0_2 Depth=1
	v_cvt_f32_u32_e32 v4, s18
	s_sub_i32 s20, 0, s18
	v_rcp_iflag_f32_e32 v4, v4
	v_mul_f32_e32 v4, 0x4f7ffffe, v4
	v_cvt_u32_f32_e32 v4, v4
	v_mul_lo_u32 v7, s20, v4
	v_mul_hi_u32 v7, v4, v7
	v_add_u32_e32 v4, v4, v7
	v_mul_hi_u32 v4, v5, v4
	v_mul_lo_u32 v7, v4, s18
	v_add_u32_e32 v8, 1, v4
	v_sub_u32_e32 v7, v5, v7
	v_subrev_u32_e32 v9, s18, v7
	v_cmp_le_u32_e32 vcc, s18, v7
	v_cndmask_b32_e32 v7, v7, v9, vcc
	v_cndmask_b32_e32 v4, v4, v8, vcc
	v_add_u32_e32 v8, 1, v4
	v_cmp_le_u32_e32 vcc, s18, v7
	v_cndmask_b32_e32 v7, v4, v8, vcc
	v_mov_b32_e32 v8, v3
.LBB0_6:                                ;   in Loop: Header=BB0_2 Depth=1
	s_or_b64 exec, exec, s[0:1]
	v_mul_lo_u32 v4, v8, s18
	v_mul_lo_u32 v11, v7, s19
	v_mad_u64_u32 v[9:10], s[0:1], v7, s18, 0
	s_load_dwordx2 s[0:1], s[6:7], 0x0
	s_add_u32 s16, s16, 1
	v_add3_u32 v4, v10, v11, v4
	v_sub_co_u32_e32 v5, vcc, v5, v9
	v_subb_co_u32_e32 v4, vcc, v6, v4, vcc
	s_waitcnt lgkmcnt(0)
	v_mul_lo_u32 v4, s0, v4
	v_mul_lo_u32 v6, s1, v5
	v_mad_u64_u32 v[1:2], s[0:1], s0, v5, v[1:2]
	s_addc_u32 s17, s17, 0
	s_add_u32 s6, s6, 8
	v_add3_u32 v2, v6, v2, v4
	v_mov_b32_e32 v4, s10
	v_mov_b32_e32 v5, s11
	s_addc_u32 s7, s7, 0
	v_cmp_ge_u64_e32 vcc, s[16:17], v[4:5]
	s_add_u32 s14, s14, 8
	s_addc_u32 s15, s15, 0
	s_cbranch_vccnz .LBB0_9
; %bb.7:                                ;   in Loop: Header=BB0_2 Depth=1
	v_mov_b32_e32 v5, v7
	v_mov_b32_e32 v6, v8
	s_branch .LBB0_2
.LBB0_8:
	v_mov_b32_e32 v8, v6
	v_mov_b32_e32 v7, v5
.LBB0_9:
	s_lshl_b64 s[0:1], s[10:11], 3
	s_add_u32 s0, s2, s0
	s_addc_u32 s1, s3, s1
	s_load_dwordx2 s[2:3], s[0:1], 0x0
	s_load_dwordx2 s[6:7], s[4:5], 0x20
                                        ; implicit-def: $vgpr98_vgpr99
                                        ; implicit-def: $vgpr26_vgpr27
                                        ; implicit-def: $vgpr22_vgpr23
                                        ; implicit-def: $vgpr18_vgpr19
                                        ; implicit-def: $vgpr30_vgpr31
                                        ; implicit-def: $vgpr50_vgpr51
                                        ; implicit-def: $vgpr66_vgpr67
                                        ; implicit-def: $vgpr42_vgpr43
                                        ; implicit-def: $vgpr62_vgpr63
                                        ; implicit-def: $vgpr46_vgpr47
                                        ; implicit-def: $vgpr78_vgpr79
                                        ; implicit-def: $vgpr54_vgpr55
                                        ; implicit-def: $vgpr74_vgpr75
                                        ; implicit-def: $vgpr58_vgpr59
                                        ; implicit-def: $vgpr86_vgpr87
                                        ; implicit-def: $vgpr70_vgpr71
                                        ; implicit-def: $vgpr90_vgpr91
                                        ; implicit-def: $vgpr82_vgpr83
                                        ; implicit-def: $vgpr34_vgpr35
                                        ; implicit-def: $vgpr94_vgpr95
                                        ; implicit-def: $vgpr38_vgpr39
                                        ; implicit-def: $vgpr14_vgpr15
                                        ; implicit-def: $vgpr102_vgpr103
                                        ; implicit-def: $vgpr10_vgpr11
	s_waitcnt lgkmcnt(0)
	v_mad_u64_u32 v[1:2], s[0:1], s2, v7, v[1:2]
	v_mul_lo_u32 v3, s2, v8
	v_mul_lo_u32 v4, s3, v7
	s_mov_b32 s0, 0x4ec4ec5
	v_mul_hi_u32 v5, v0, s0
	v_cmp_gt_u64_e64 s[0:1], s[6:7], v[7:8]
	v_add3_u32 v2, v4, v2, v3
	v_lshlrev_b64 v[106:107], 4, v[1:2]
	v_mul_u32_u24_e32 v3, 52, v5
	v_sub_u32_e32 v104, v0, v3
                                        ; implicit-def: $vgpr2_vgpr3
                                        ; implicit-def: $vgpr6_vgpr7
	s_and_saveexec_b64 s[2:3], s[0:1]
	s_cbranch_execz .LBB0_11
; %bb.10:
	v_mov_b32_e32 v105, 0
	v_mov_b32_e32 v0, s13
	v_add_co_u32_e32 v18, vcc, s12, v106
	v_addc_co_u32_e32 v19, vcc, v0, v107, vcc
	v_lshlrev_b64 v[0:1], 4, v[104:105]
	s_movk_i32 s4, 0x2000
	v_add_co_u32_e32 v76, vcc, v18, v0
	v_addc_co_u32_e32 v77, vcc, v19, v1, vcc
	v_add_co_u32_e32 v78, vcc, s4, v76
	v_addc_co_u32_e32 v79, vcc, 0, v77, vcc
	s_movk_i32 s4, 0x3000
	v_or_b32_e32 v16, 0x340, v104
	v_mov_b32_e32 v17, v105
	v_add_co_u32_e32 v40, vcc, s4, v76
	v_lshlrev_b64 v[16:17], 4, v[16:17]
	v_addc_co_u32_e32 v41, vcc, 0, v77, vcc
	v_add_co_u32_e32 v42, vcc, v18, v16
	v_addc_co_u32_e32 v43, vcc, v19, v17, vcc
	s_movk_i32 s4, 0x1000
	v_add_co_u32_e32 v108, vcc, s4, v76
	v_addc_co_u32_e32 v109, vcc, 0, v77, vcc
	s_movk_i32 s4, 0x4000
	v_add_co_u32_e32 v110, vcc, s4, v76
	v_addc_co_u32_e32 v111, vcc, 0, v77, vcc
	v_add_co_u32_e32 v112, vcc, 0x5000, v76
	global_load_dwordx4 v[8:11], v[76:77], off
	global_load_dwordx4 v[0:3], v[76:77], off offset:832
	global_load_dwordx4 v[12:15], v[76:77], off offset:1664
	;; [unrolled: 1-line block ×5, first 2 shown]
	global_load_dwordx4 v[36:39], v[42:43], off
	global_load_dwordx4 v[16:19], v[108:109], off offset:64
	global_load_dwordx4 v[32:35], v[40:41], off offset:2688
	;; [unrolled: 1-line block ×3, first 2 shown]
	v_addc_co_u32_e32 v113, vcc, 0, v77, vcc
	global_load_dwordx4 v[80:83], v[108:109], off offset:896
	global_load_dwordx4 v[48:51], v[108:109], off offset:1728
	;; [unrolled: 1-line block ×15, first 2 shown]
                                        ; kill: killed $vgpr110 killed $vgpr111
                                        ; kill: killed $vgpr76 killed $vgpr77
                                        ; kill: killed $vgpr78 killed $vgpr79
                                        ; kill: killed $vgpr108 killed $vgpr109
	global_load_dwordx4 v[76:79], v[112:113], off offset:320
.LBB0_11:
	s_or_b64 exec, exec, s[2:3]
	s_waitcnt vmcnt(11)
	v_add_f64 v[110:111], v[8:9], -v[96:97]
	s_waitcnt vmcnt(10)
	v_add_f64 v[102:103], v[2:3], -v[102:103]
	v_add_f64 v[24:25], v[12:13], -v[24:25]
	;; [unrolled: 1-line block ×4, first 2 shown]
	s_waitcnt vmcnt(4)
	v_add_f64 v[66:67], v[70:71], -v[66:67]
	v_add_f64 v[138:139], v[50:51], -v[90:91]
	;; [unrolled: 1-line block ×3, first 2 shown]
	v_fma_f64 v[108:109], v[8:9], 2.0, -v[110:111]
	v_add_f64 v[8:9], v[92:93], -v[20:21]
	v_fma_f64 v[100:101], v[2:3], 2.0, -v[102:103]
	v_add_f64 v[2:3], v[16:17], -v[32:33]
	v_add_f64 v[130:131], v[94:95], -v[22:23]
	v_fma_f64 v[22:23], v[12:13], 2.0, -v[24:25]
	v_add_f64 v[12:13], v[80:81], -v[28:29]
	v_fma_f64 v[124:125], v[6:7], 2.0, -v[126:127]
	;; [unrolled: 2-line block ×3, first 2 shown]
	v_add_f64 v[92:93], v[18:19], -v[34:35]
	v_add_f64 v[118:119], v[14:15], -v[26:27]
	;; [unrolled: 1-line block ×4, first 2 shown]
	v_fma_f64 v[112:113], v[0:1], 2.0, -v[114:115]
	v_fma_f64 v[0:1], v[16:17], 2.0, -v[2:3]
	s_waitcnt vmcnt(3)
	v_add_f64 v[16:17], v[40:41], -v[84:85]
	s_waitcnt vmcnt(2)
	v_add_f64 v[32:33], v[56:57], -v[60:61]
	s_waitcnt vmcnt(1)
	v_add_f64 v[36:37], v[44:45], -v[72:73]
	v_add_f64 v[134:135], v[82:83], -v[30:31]
	v_fma_f64 v[64:65], v[70:71], 2.0, -v[66:67]
	v_add_f64 v[70:71], v[46:47], -v[74:75]
	s_waitcnt vmcnt(0)
	v_add_f64 v[74:75], v[52:53], -v[76:77]
	v_fma_f64 v[136:137], v[50:51], 2.0, -v[138:139]
	v_add_f64 v[50:51], v[42:43], -v[86:87]
	v_fma_f64 v[96:97], v[10:11], 2.0, -v[98:99]
	v_fma_f64 v[10:11], v[80:81], 2.0, -v[12:13]
	v_add_f64 v[60:61], v[58:59], -v[62:63]
	v_add_f64 v[78:79], v[54:55], -v[78:79]
	v_fma_f64 v[90:91], v[18:19], 2.0, -v[92:93]
	v_fma_f64 v[18:19], v[48:49], 2.0, -v[20:21]
	;; [unrolled: 1-line block ×11, first 2 shown]
	v_add_u32_e32 v152, 52, v104
	v_add_u32_e32 v161, 0xd0, v104
	;; [unrolled: 1-line block ×4, first 2 shown]
	v_lshl_add_u32 v162, v104, 3, 0
	v_fma_f64 v[48:49], v[42:43], 2.0, -v[50:51]
	v_lshl_add_u32 v52, v104, 4, 0
	v_lshl_add_u32 v53, v152, 4, 0
	;; [unrolled: 1-line block ×5, first 2 shown]
	v_add_u32_e32 v163, 0x400, v162
	v_add_u32_e32 v164, 0x800, v162
	;; [unrolled: 1-line block ×7, first 2 shown]
	v_and_b32_e32 v153, 1, v104
	v_fma_f64 v[58:59], v[58:59], 2.0, -v[60:61]
	v_fma_f64 v[68:69], v[46:47], 2.0, -v[70:71]
	v_fma_f64 v[76:77], v[54:55], 2.0, -v[78:79]
	ds_write_b128 v52, v[108:111]
	ds_write_b128 v53, v[112:115]
	ds_write_b128 v52, v[22:25] offset:1664
	ds_write_b128 v52, v[120:123] offset:2496
	ds_write_b128 v62, v[6:9]
	ds_write_b128 v63, v[0:3]
	;; [unrolled: 1-line block ×3, first 2 shown]
	ds_write_b128 v52, v[18:21] offset:5824
	ds_write_b128 v52, v[26:29] offset:6656
	;; [unrolled: 1-line block ×6, first 2 shown]
	s_waitcnt lgkmcnt(0)
	; wave barrier
	s_waitcnt lgkmcnt(0)
	ds_read2_b64 v[0:3], v162 offset1:52
	ds_read2_b64 v[40:43], v162 offset0:104 offset1:156
	ds_read2_b64 v[44:47], v163 offset0:80 offset1:132
	;; [unrolled: 1-line block ×12, first 2 shown]
	s_waitcnt lgkmcnt(0)
	; wave barrier
	s_waitcnt lgkmcnt(0)
	ds_write_b128 v52, v[96:99]
	ds_write_b128 v53, v[100:103]
	ds_write_b128 v52, v[116:119] offset:1664
	ds_write_b128 v52, v[124:127] offset:2496
	ds_write_b128 v62, v[128:131]
	ds_write_b128 v63, v[90:93]
	;; [unrolled: 1-line block ×3, first 2 shown]
	ds_write_b128 v52, v[136:139] offset:5824
	ds_write_b128 v52, v[64:67] offset:6656
	;; [unrolled: 1-line block ×6, first 2 shown]
	v_mul_u32_u24_e32 v48, 12, v153
	v_lshlrev_b32_e32 v80, 4, v48
	s_waitcnt lgkmcnt(0)
	; wave barrier
	s_waitcnt lgkmcnt(0)
	global_load_dwordx4 v[48:51], v80, s[8:9]
	global_load_dwordx4 v[58:61], v80, s[8:9] offset:16
	global_load_dwordx4 v[62:65], v80, s[8:9] offset:32
	;; [unrolled: 1-line block ×8, first 2 shown]
	ds_read2_b64 v[66:69], v162 offset0:104 offset1:156
	ds_read2_b64 v[74:77], v163 offset0:80 offset1:132
	global_load_dwordx4 v[118:121], v80, s[8:9] offset:144
	ds_read2_b64 v[112:115], v164 offset0:56 offset1:108
	global_load_dwordx4 v[122:125], v80, s[8:9] offset:160
	global_load_dwordx4 v[126:129], v80, s[8:9] offset:176
	s_mov_b32 s30, 0x4267c47c
	s_mov_b32 s18, 0x42a4c3d2
	;; [unrolled: 1-line block ×36, first 2 shown]
	v_cmp_gt_u32_e64 s[2:3], 26, v104
	s_movk_i32 s33, 0x4f
	s_waitcnt vmcnt(11) lgkmcnt(2)
	v_mul_f64 v[52:53], v[66:67], v[50:51]
	v_mul_f64 v[78:79], v[40:41], v[50:51]
	;; [unrolled: 1-line block ×4, first 2 shown]
	v_fma_f64 v[82:83], v[40:41], v[48:49], -v[52:53]
	s_waitcnt vmcnt(10) lgkmcnt(1)
	v_mul_f64 v[40:41], v[74:75], v[60:61]
	v_fma_f64 v[80:81], v[66:67], v[48:49], v[78:79]
	v_mul_f64 v[66:67], v[76:77], v[60:61]
	v_fma_f64 v[116:117], v[42:43], v[48:49], -v[108:109]
	v_mul_f64 v[42:43], v[44:45], v[60:61]
	v_mul_f64 v[60:61], v[46:47], v[60:61]
	v_fma_f64 v[110:111], v[68:69], v[48:49], v[50:51]
	ds_read2_b64 v[48:51], v164 offset0:160 offset1:212
	s_waitcnt vmcnt(9) lgkmcnt(1)
	v_mul_f64 v[68:69], v[112:113], v[64:65]
	v_fma_f64 v[52:53], v[44:45], v[58:59], -v[40:41]
	v_mul_f64 v[40:41], v[114:115], v[64:65]
	v_fma_f64 v[44:45], v[46:47], v[58:59], -v[66:67]
	v_mul_f64 v[66:67], v[54:55], v[64:65]
	v_fma_f64 v[108:109], v[74:75], v[58:59], v[42:43]
	v_fma_f64 v[46:47], v[76:77], v[58:59], v[60:61]
	s_waitcnt vmcnt(8) lgkmcnt(0)
	v_mul_f64 v[58:59], v[48:49], v[72:73]
	v_mul_f64 v[60:61], v[50:51], v[72:73]
	;; [unrolled: 1-line block ×3, first 2 shown]
	v_fma_f64 v[74:75], v[54:55], v[62:63], -v[68:69]
	v_fma_f64 v[40:41], v[56:57], v[62:63], -v[40:41]
	ds_read2_b64 v[54:57], v165 offset0:8 offset1:60
	v_mul_f64 v[68:69], v[36:37], v[72:73]
	v_mul_f64 v[72:73], v[38:39], v[72:73]
	v_fma_f64 v[76:77], v[112:113], v[62:63], v[66:67]
	v_fma_f64 v[66:67], v[36:37], v[70:71], -v[58:59]
	s_waitcnt vmcnt(7) lgkmcnt(0)
	v_mul_f64 v[58:59], v[54:55], v[86:87]
	v_fma_f64 v[36:37], v[38:39], v[70:71], -v[60:61]
	v_mul_f64 v[60:61], v[56:57], v[86:87]
	v_mul_f64 v[78:79], v[32:33], v[86:87]
	v_fma_f64 v[42:43], v[114:115], v[62:63], v[42:43]
	ds_read2_b64 v[62:65], v165 offset0:112 offset1:164
	v_fma_f64 v[68:69], v[48:49], v[70:71], v[68:69]
	v_mul_f64 v[48:49], v[34:35], v[86:87]
	v_fma_f64 v[38:39], v[50:51], v[70:71], v[72:73]
	ds_read2_b64 v[70:73], v151 offset0:88 offset1:140
	s_waitcnt vmcnt(6) lgkmcnt(1)
	v_mul_f64 v[50:51], v[62:63], v[90:91]
	v_mul_f64 v[86:87], v[64:65], v[90:91]
	v_fma_f64 v[58:59], v[32:33], v[84:85], -v[58:59]
	v_fma_f64 v[32:33], v[34:35], v[84:85], -v[60:61]
	v_fma_f64 v[60:61], v[54:55], v[84:85], v[78:79]
	v_mul_f64 v[54:55], v[28:29], v[90:91]
	v_fma_f64 v[34:35], v[56:57], v[84:85], v[48:49]
	v_mul_f64 v[56:57], v[30:31], v[90:91]
	s_waitcnt vmcnt(5) lgkmcnt(0)
	v_mul_f64 v[78:79], v[70:71], v[94:95]
	v_mul_f64 v[90:91], v[72:73], v[94:95]
	v_fma_f64 v[48:49], v[28:29], v[88:89], -v[50:51]
	v_fma_f64 v[28:29], v[30:31], v[88:89], -v[86:87]
	ds_read2_b64 v[84:87], v166 offset0:64 offset1:116
	v_mul_f64 v[112:113], v[24:25], v[94:95]
	v_fma_f64 v[50:51], v[62:63], v[88:89], v[54:55]
	v_mul_f64 v[62:63], v[26:27], v[94:95]
	v_fma_f64 v[30:31], v[64:65], v[88:89], v[56:57]
	v_fma_f64 v[54:55], v[24:25], v[92:93], -v[78:79]
	s_waitcnt vmcnt(4) lgkmcnt(0)
	v_mul_f64 v[64:65], v[84:85], v[98:99]
	v_fma_f64 v[24:25], v[26:27], v[92:93], -v[90:91]
	ds_read2_b64 v[88:91], v166 offset0:168 offset1:220
	v_mul_f64 v[78:79], v[20:21], v[98:99]
	v_fma_f64 v[56:57], v[70:71], v[92:93], v[112:113]
	v_mul_f64 v[70:71], v[86:87], v[98:99]
	v_fma_f64 v[26:27], v[72:73], v[92:93], v[62:63]
	v_mul_f64 v[72:73], v[22:23], v[98:99]
	s_waitcnt vmcnt(3) lgkmcnt(0)
	v_mul_f64 v[98:99], v[88:89], v[102:103]
	v_fma_f64 v[62:63], v[20:21], v[96:97], -v[64:65]
	v_mul_f64 v[112:113], v[90:91], v[102:103]
	v_mul_f64 v[114:115], v[16:17], v[102:103]
	v_fma_f64 v[64:65], v[84:85], v[96:97], v[78:79]
	v_mul_f64 v[78:79], v[18:19], v[102:103]
	ds_read2_b64 v[92:95], v167 offset0:16 offset1:68
	v_fma_f64 v[20:21], v[22:23], v[96:97], -v[70:71]
	v_fma_f64 v[22:23], v[86:87], v[96:97], v[72:73]
	v_fma_f64 v[72:73], v[16:17], v[100:101], -v[98:99]
	s_waitcnt vmcnt(0)
	v_mul_f64 v[102:103], v[4:5], v[128:129]
	s_waitcnt lgkmcnt(0)
	v_mul_f64 v[96:97], v[92:93], v[120:121]
	v_mul_f64 v[98:99], v[94:95], v[120:121]
	v_fma_f64 v[16:17], v[18:19], v[100:101], -v[112:113]
	v_fma_f64 v[70:71], v[88:89], v[100:101], v[114:115]
	v_fma_f64 v[18:19], v[90:91], v[100:101], v[78:79]
	ds_read2_b64 v[84:87], v150 offset0:96 offset1:148
	ds_read2_b64 v[88:91], v167 offset0:120 offset1:172
	v_mul_f64 v[100:101], v[12:13], v[120:121]
	v_mul_f64 v[114:115], v[14:15], v[120:121]
	v_fma_f64 v[78:79], v[12:13], v[118:119], -v[96:97]
	v_fma_f64 v[12:13], v[14:15], v[118:119], -v[98:99]
	s_waitcnt lgkmcnt(1)
	v_mul_f64 v[96:97], v[84:85], v[128:129]
	s_waitcnt lgkmcnt(0)
	v_mul_f64 v[98:99], v[88:89], v[124:125]
	v_fma_f64 v[112:113], v[84:85], v[126:127], v[102:103]
	v_mul_f64 v[120:121], v[90:91], v[124:125]
	v_fma_f64 v[102:103], v[92:93], v[118:119], v[100:101]
	v_fma_f64 v[14:15], v[94:95], v[118:119], v[114:115]
	v_mul_f64 v[84:85], v[8:9], v[124:125]
	v_mul_f64 v[92:93], v[10:11], v[124:125]
	v_fma_f64 v[114:115], v[4:5], v[126:127], -v[96:97]
	v_fma_f64 v[118:119], v[8:9], v[122:123], -v[98:99]
	v_add_f64 v[96:97], v[80:81], -v[112:113]
	v_mul_f64 v[8:9], v[86:87], v[128:129]
	v_mul_f64 v[94:95], v[6:7], v[128:129]
	v_fma_f64 v[4:5], v[10:11], v[122:123], -v[120:121]
	v_fma_f64 v[120:121], v[88:89], v[122:123], v[84:85]
	v_fma_f64 v[10:11], v[90:91], v[122:123], v[92:93]
	v_add_f64 v[98:99], v[82:83], v[114:115]
	v_add_f64 v[124:125], v[82:83], -v[114:115]
	v_mul_f64 v[88:89], v[96:97], s[30:31]
	v_fma_f64 v[8:9], v[6:7], v[126:127], -v[8:9]
	v_fma_f64 v[6:7], v[86:87], v[126:127], v[94:95]
	v_mul_f64 v[90:91], v[96:97], s[18:19]
	v_mul_f64 v[94:95], v[96:97], s[26:27]
	;; [unrolled: 1-line block ×5, first 2 shown]
	v_fma_f64 v[84:85], v[98:99], s[4:5], -v[88:89]
	v_fma_f64 v[86:87], v[98:99], s[4:5], v[88:89]
	v_add_f64 v[130:131], v[80:81], v[112:113]
	v_fma_f64 v[88:89], v[98:99], s[10:11], -v[90:91]
	v_fma_f64 v[90:91], v[98:99], s[10:11], v[90:91]
	v_fma_f64 v[92:93], v[98:99], s[6:7], -v[94:95]
	v_fma_f64 v[94:95], v[98:99], s[6:7], v[94:95]
	;; [unrolled: 2-line block ×5, first 2 shown]
	v_mul_f64 v[98:99], v[124:125], s[18:19]
	v_add_f64 v[144:145], v[110:111], -v[6:7]
	v_mul_f64 v[132:133], v[124:125], s[30:31]
	v_mul_f64 v[140:141], v[124:125], s[26:27]
	;; [unrolled: 1-line block ×3, first 2 shown]
	v_add_f64 v[196:197], v[0:1], v[82:83]
	v_add_f64 v[198:199], v[0:1], v[84:85]
	;; [unrolled: 1-line block ×3, first 2 shown]
	v_fma_f64 v[146:147], v[130:131], s[10:11], v[98:99]
	v_fma_f64 v[148:149], v[130:131], s[10:11], -v[98:99]
	v_add_f64 v[98:99], v[116:117], v[8:9]
	v_mul_f64 v[154:155], v[144:145], s[30:31]
	v_fma_f64 v[126:127], v[130:131], s[4:5], v[132:133]
	v_fma_f64 v[122:123], v[130:131], s[4:5], -v[132:133]
	v_mul_f64 v[132:133], v[124:125], s[16:17]
	v_mul_f64 v[124:125], v[124:125], s[24:25]
	;; [unrolled: 1-line block ×3, first 2 shown]
	v_fma_f64 v[158:159], v[130:131], s[6:7], v[140:141]
	v_fma_f64 v[140:141], v[130:131], s[6:7], -v[140:141]
	v_fma_f64 v[174:175], v[98:99], s[4:5], -v[154:155]
	v_fma_f64 v[178:179], v[98:99], s[4:5], v[154:155]
	v_mul_f64 v[154:155], v[144:145], s[20:21]
	v_fma_f64 v[168:169], v[130:131], s[14:15], v[132:133]
	v_fma_f64 v[132:133], v[130:131], s[14:15], -v[132:133]
	v_fma_f64 v[170:171], v[130:131], s[22:23], v[142:143]
	v_fma_f64 v[142:143], v[130:131], s[22:23], -v[142:143]
	;; [unrolled: 2-line block ×3, first 2 shown]
	v_mul_f64 v[124:125], v[144:145], s[26:27]
	v_mul_f64 v[176:177], v[144:145], s[16:17]
	;; [unrolled: 1-line block ×3, first 2 shown]
	v_fma_f64 v[180:181], v[98:99], s[10:11], -v[156:157]
	v_fma_f64 v[182:183], v[98:99], s[10:11], v[156:157]
	v_fma_f64 v[190:191], v[98:99], s[22:23], -v[154:155]
	v_fma_f64 v[192:193], v[98:99], s[22:23], v[154:155]
	ds_read2_b64 v[154:157], v162 offset1:52
	v_fma_f64 v[184:185], v[98:99], s[6:7], -v[124:125]
	v_fma_f64 v[186:187], v[98:99], s[6:7], v[124:125]
	v_fma_f64 v[188:189], v[98:99], s[14:15], -v[176:177]
	v_fma_f64 v[176:177], v[98:99], s[14:15], v[176:177]
	;; [unrolled: 2-line block ×3, first 2 shown]
	v_add_f64 v[202:203], v[0:1], v[88:89]
	v_add_f64 v[204:205], v[0:1], v[90:91]
	;; [unrolled: 1-line block ×10, first 2 shown]
	s_waitcnt lgkmcnt(0)
	v_add_f64 v[0:1], v[154:155], v[80:81]
	v_add_f64 v[136:137], v[196:197], v[52:53]
	;; [unrolled: 1-line block ×6, first 2 shown]
	v_add_f64 v[128:129], v[116:117], -v[8:9]
	v_add_f64 v[96:97], v[2:3], v[184:185]
	v_add_f64 v[90:91], v[2:3], v[186:187]
	;; [unrolled: 1-line block ×13, first 2 shown]
	v_mul_f64 v[176:177], v[128:129], s[16:17]
	v_mul_f64 v[138:139], v[128:129], s[30:31]
	;; [unrolled: 1-line block ×5, first 2 shown]
	v_add_f64 v[116:117], v[116:117], v[66:67]
	v_mul_f64 v[128:129], v[128:129], s[24:25]
	v_add_f64 v[0:1], v[0:1], v[68:69]
	v_fma_f64 v[186:187], v[134:135], s[14:15], v[176:177]
	v_fma_f64 v[176:177], v[134:135], s[14:15], -v[176:177]
	v_fma_f64 v[136:137], v[134:135], s[4:5], v[138:139]
	v_fma_f64 v[138:139], v[134:135], s[4:5], -v[138:139]
	v_fma_f64 v[180:181], v[134:135], s[10:11], v[144:145]
	v_add_f64 v[116:117], v[116:117], v[58:59]
	v_fma_f64 v[182:183], v[134:135], s[10:11], -v[144:145]
	v_add_f64 v[0:1], v[0:1], v[60:61]
	v_fma_f64 v[184:185], v[134:135], s[6:7], v[174:175]
	v_fma_f64 v[174:175], v[134:135], s[6:7], -v[174:175]
	v_fma_f64 v[188:189], v[134:135], s[22:23], v[178:179]
	v_fma_f64 v[178:179], v[134:135], s[22:23], -v[178:179]
	v_fma_f64 v[190:191], v[134:135], s[28:29], v[128:129]
	v_add_f64 v[116:117], v[116:117], v[48:49]
	v_fma_f64 v[192:193], v[134:135], s[28:29], -v[128:129]
	v_add_f64 v[0:1], v[0:1], v[50:51]
	v_add_f64 v[134:135], v[156:157], v[176:177]
	v_add_f64 v[176:177], v[52:53], -v[118:119]
	v_add_f64 v[222:223], v[154:155], v[148:149]
	v_add_f64 v[148:149], v[156:157], v[136:137]
	;; [unrolled: 1-line block ×6, first 2 shown]
	v_add_f64 v[174:175], v[108:109], -v[120:121]
	v_add_f64 v[108:109], v[108:109], v[120:121]
	v_mul_f64 v[180:181], v[176:177], s[18:19]
	v_add_f64 v[194:195], v[154:155], v[126:127]
	v_add_f64 v[224:225], v[154:155], v[140:141]
	;; [unrolled: 1-line block ×7, first 2 shown]
	v_fma_f64 v[184:185], v[108:109], s[10:11], v[180:181]
	v_mul_f64 v[52:53], v[174:175], s[18:19]
	v_add_f64 v[122:123], v[154:155], v[122:123]
	v_add_f64 v[116:117], v[116:117], v[72:73]
	;; [unrolled: 1-line block ×22, first 2 shown]
	v_mul_f64 v[156:157], v[174:175], s[16:17]
	v_mul_f64 v[120:121], v[176:177], s[16:17]
	v_fma_f64 v[182:183], v[178:179], s[10:11], -v[52:53]
	v_add_f64 v[0:1], v[116:117], v[114:115]
	v_add_f64 v[116:117], v[184:185], v[194:195]
	v_mul_f64 v[184:185], v[176:177], s[24:25]
	v_mul_f64 v[192:193], v[176:177], s[38:39]
	v_fma_f64 v[186:187], v[178:179], s[10:11], v[52:53]
	v_fma_f64 v[180:181], v[108:109], s[10:11], -v[180:181]
	v_fma_f64 v[188:189], v[178:179], s[14:15], -v[156:157]
	v_add_f64 v[52:53], v[118:119], v[112:113]
	v_fma_f64 v[112:113], v[108:109], s[14:15], v[120:121]
	v_add_f64 v[114:115], v[182:183], v[198:199]
	v_fma_f64 v[190:191], v[108:109], s[28:29], v[184:185]
	v_mul_f64 v[182:183], v[174:175], s[24:25]
	v_fma_f64 v[156:157], v[178:179], s[14:15], v[156:157]
	v_add_f64 v[118:119], v[186:187], v[200:201]
	v_add_f64 v[122:123], v[180:181], v[122:123]
	;; [unrolled: 1-line block ×4, first 2 shown]
	v_mul_f64 v[186:187], v[174:175], s[38:39]
	v_add_f64 v[158:159], v[190:191], v[158:159]
	v_fma_f64 v[190:191], v[108:109], s[22:23], v[192:193]
	v_fma_f64 v[192:193], v[108:109], s[22:23], -v[192:193]
	v_fma_f64 v[188:189], v[178:179], s[28:29], -v[182:183]
	v_add_f64 v[156:157], v[156:157], v[204:205]
	v_mul_f64 v[196:197], v[174:175], s[34:35]
	v_mul_f64 v[174:175], v[174:175], s[36:37]
	v_add_f64 v[200:201], v[76:77], -v[102:103]
	v_add_f64 v[204:205], v[74:75], -v[78:79]
	v_add_f64 v[168:169], v[190:191], v[168:169]
	v_add_f64 v[190:191], v[192:193], v[226:227]
	v_mul_f64 v[192:193], v[176:177], s[34:35]
	v_mul_f64 v[176:177], v[176:177], s[36:37]
	v_fma_f64 v[120:121], v[108:109], s[14:15], -v[120:121]
	v_fma_f64 v[182:183], v[178:179], s[28:29], v[182:183]
	v_fma_f64 v[184:185], v[108:109], s[28:29], -v[184:185]
	v_fma_f64 v[194:195], v[178:179], s[22:23], -v[186:187]
	v_add_f64 v[188:189], v[188:189], v[206:207]
	v_fma_f64 v[186:187], v[178:179], s[22:23], v[186:187]
	v_fma_f64 v[198:199], v[178:179], s[6:7], -v[196:197]
	v_fma_f64 v[196:197], v[178:179], s[6:7], v[196:197]
	v_fma_f64 v[202:203], v[178:179], s[4:5], -v[174:175]
	v_fma_f64 v[174:175], v[178:179], s[4:5], v[174:175]
	v_fma_f64 v[178:179], v[108:109], s[6:7], v[192:193]
	v_fma_f64 v[192:193], v[108:109], s[6:7], -v[192:193]
	v_add_f64 v[74:75], v[74:75], v[78:79]
	v_mul_f64 v[78:79], v[200:201], s[26:27]
	v_fma_f64 v[206:207], v[108:109], s[4:5], v[176:177]
	v_add_f64 v[76:77], v[76:77], v[102:103]
	v_mul_f64 v[102:103], v[204:205], s[26:27]
	v_fma_f64 v[108:109], v[108:109], s[4:5], -v[176:177]
	v_add_f64 v[176:177], v[198:199], v[214:215]
	v_add_f64 v[170:171], v[178:179], v[170:171]
	;; [unrolled: 1-line block ×3, first 2 shown]
	v_fma_f64 v[196:197], v[74:75], s[6:7], -v[78:79]
	v_add_f64 v[198:199], v[202:203], v[218:219]
	v_add_f64 v[172:173], v[206:207], v[172:173]
	v_fma_f64 v[202:203], v[76:77], s[6:7], v[102:103]
	v_mul_f64 v[206:207], v[200:201], s[24:25]
	v_add_f64 v[108:109], v[108:109], v[154:155]
	v_mul_f64 v[154:155], v[204:205], s[24:25]
	v_fma_f64 v[78:79], v[74:75], s[6:7], v[78:79]
	v_add_f64 v[182:183], v[182:183], v[208:209]
	v_add_f64 v[114:115], v[196:197], v[114:115]
	v_fma_f64 v[102:103], v[76:77], s[6:7], -v[102:103]
	v_add_f64 v[116:117], v[202:203], v[116:117]
	v_fma_f64 v[196:197], v[74:75], s[28:29], -v[206:207]
	v_mul_f64 v[202:203], v[200:201], s[40:41]
	v_fma_f64 v[208:209], v[76:77], s[28:29], v[154:155]
	v_add_f64 v[78:79], v[78:79], v[118:119]
	v_mul_f64 v[118:119], v[204:205], s[40:41]
	v_add_f64 v[120:121], v[120:121], v[222:223]
	v_add_f64 v[184:185], v[184:185], v[224:225]
	;; [unrolled: 1-line block ×5, first 2 shown]
	v_fma_f64 v[180:181], v[74:75], s[28:29], v[206:207]
	v_fma_f64 v[154:155], v[76:77], s[28:29], -v[154:155]
	v_fma_f64 v[196:197], v[74:75], s[14:15], -v[202:203]
	v_add_f64 v[112:113], v[208:209], v[112:113]
	v_mul_f64 v[206:207], v[200:201], s[36:37]
	v_fma_f64 v[208:209], v[76:77], s[14:15], v[118:119]
	v_fma_f64 v[202:203], v[74:75], s[14:15], v[202:203]
	v_mul_f64 v[210:211], v[204:205], s[36:37]
	v_fma_f64 v[118:119], v[76:77], s[14:15], -v[118:119]
	v_add_f64 v[156:157], v[180:181], v[156:157]
	v_add_f64 v[120:121], v[154:155], v[120:121]
	;; [unrolled: 1-line block ×3, first 2 shown]
	v_fma_f64 v[180:181], v[74:75], s[4:5], -v[206:207]
	v_fma_f64 v[196:197], v[74:75], s[4:5], v[206:207]
	v_add_f64 v[182:183], v[202:203], v[182:183]
	v_fma_f64 v[188:189], v[76:77], s[4:5], v[210:211]
	v_fma_f64 v[202:203], v[76:77], s[4:5], -v[210:211]
	v_mul_f64 v[206:207], v[200:201], s[18:19]
	v_add_f64 v[118:119], v[118:119], v[184:185]
	v_mul_f64 v[184:185], v[200:201], s[20:21]
	v_add_f64 v[186:187], v[186:187], v[212:213]
	v_add_f64 v[180:181], v[180:181], v[194:195]
	v_mul_f64 v[194:195], v[204:205], s[18:19]
	v_add_f64 v[168:169], v[188:189], v[168:169]
	v_add_f64 v[188:189], v[202:203], v[190:191]
	v_fma_f64 v[190:191], v[74:75], s[10:11], -v[206:207]
	v_fma_f64 v[200:201], v[74:75], s[10:11], v[206:207]
	v_fma_f64 v[202:203], v[74:75], s[22:23], -v[184:185]
	v_fma_f64 v[74:75], v[74:75], s[22:23], v[184:185]
	v_add_f64 v[184:185], v[68:69], -v[70:71]
	v_add_f64 v[192:193], v[192:193], v[228:229]
	v_add_f64 v[186:187], v[196:197], v[186:187]
	v_mul_f64 v[196:197], v[204:205], s[20:21]
	v_fma_f64 v[204:205], v[76:77], s[10:11], v[194:195]
	v_fma_f64 v[194:195], v[76:77], s[10:11], -v[194:195]
	v_add_f64 v[206:207], v[66:67], -v[72:73]
	v_add_f64 v[66:67], v[66:67], v[72:73]
	v_mul_f64 v[72:73], v[184:185], s[16:17]
	v_add_f64 v[174:175], v[174:175], v[220:221]
	v_add_f64 v[158:159], v[208:209], v[158:159]
	v_fma_f64 v[208:209], v[76:77], s[22:23], v[196:197]
	v_fma_f64 v[76:77], v[76:77], s[22:23], -v[196:197]
	v_add_f64 v[176:177], v[190:191], v[176:177]
	v_add_f64 v[68:69], v[68:69], v[70:71]
	v_mul_f64 v[70:71], v[206:207], s[16:17]
	v_add_f64 v[190:191], v[194:195], v[192:193]
	v_add_f64 v[192:193], v[202:203], v[198:199]
	v_mul_f64 v[194:195], v[184:185], s[38:39]
	v_fma_f64 v[196:197], v[66:67], s[14:15], -v[72:73]
	v_mul_f64 v[198:199], v[206:207], s[38:39]
	v_fma_f64 v[72:73], v[66:67], s[14:15], v[72:73]
	v_add_f64 v[178:179], v[200:201], v[178:179]
	v_fma_f64 v[200:201], v[68:69], s[14:15], v[70:71]
	v_add_f64 v[74:75], v[74:75], v[174:175]
	v_add_f64 v[76:77], v[76:77], v[108:109]
	v_fma_f64 v[70:71], v[68:69], s[14:15], -v[70:71]
	v_fma_f64 v[108:109], v[66:67], s[22:23], -v[194:195]
	v_fma_f64 v[174:175], v[68:69], s[22:23], v[198:199]
	v_add_f64 v[72:73], v[72:73], v[78:79]
	v_mul_f64 v[78:79], v[184:185], s[36:37]
	v_add_f64 v[114:115], v[196:197], v[114:115]
	v_mul_f64 v[196:197], v[206:207], s[36:37]
	v_mul_f64 v[202:203], v[206:207], s[26:27]
	v_add_f64 v[70:71], v[70:71], v[102:103]
	v_add_f64 v[102:103], v[108:109], v[122:123]
	v_mul_f64 v[108:109], v[184:185], s[26:27]
	v_add_f64 v[112:113], v[174:175], v[112:113]
	v_fma_f64 v[122:123], v[66:67], s[22:23], v[194:195]
	v_fma_f64 v[174:175], v[68:69], s[22:23], -v[198:199]
	v_fma_f64 v[194:195], v[66:67], s[4:5], -v[78:79]
	v_fma_f64 v[78:79], v[66:67], s[4:5], v[78:79]
	v_add_f64 v[116:117], v[200:201], v[116:117]
	v_fma_f64 v[198:199], v[68:69], s[4:5], v[196:197]
	v_fma_f64 v[200:201], v[66:67], s[6:7], -v[108:109]
	v_fma_f64 v[108:109], v[66:67], s[6:7], v[108:109]
	v_fma_f64 v[196:197], v[68:69], s[4:5], -v[196:197]
	v_add_f64 v[120:121], v[174:175], v[120:121]
	v_fma_f64 v[174:175], v[68:69], s[6:7], v[202:203]
	v_add_f64 v[78:79], v[78:79], v[182:183]
	v_mul_f64 v[182:183], v[184:185], s[44:45]
	v_mul_f64 v[184:185], v[184:185], s[42:43]
	v_add_f64 v[122:123], v[122:123], v[156:157]
	v_add_f64 v[154:155], v[194:195], v[154:155]
	;; [unrolled: 1-line block ×4, first 2 shown]
	v_fma_f64 v[180:181], v[68:69], s[6:7], -v[202:203]
	v_add_f64 v[168:169], v[174:175], v[168:169]
	v_add_f64 v[108:109], v[108:109], v[186:187]
	v_mul_f64 v[174:175], v[206:207], s[44:45]
	v_fma_f64 v[186:187], v[66:67], s[28:29], -v[182:183]
	v_fma_f64 v[182:183], v[66:67], s[28:29], v[182:183]
	v_fma_f64 v[194:195], v[66:67], s[10:11], -v[184:185]
	v_fma_f64 v[66:67], v[66:67], s[10:11], v[184:185]
	v_add_f64 v[184:185], v[60:61], -v[64:65]
	v_add_f64 v[198:199], v[58:59], -v[62:63]
	v_add_f64 v[118:119], v[196:197], v[118:119]
	v_add_f64 v[180:181], v[180:181], v[188:189]
	v_mul_f64 v[188:189], v[206:207], s[42:43]
	v_fma_f64 v[196:197], v[68:69], s[28:29], v[174:175]
	v_fma_f64 v[174:175], v[68:69], s[28:29], -v[174:175]
	v_add_f64 v[58:59], v[58:59], v[62:63]
	v_mul_f64 v[62:63], v[184:185], s[20:21]
	v_add_f64 v[60:61], v[60:61], v[64:65]
	v_mul_f64 v[64:65], v[198:199], s[20:21]
	v_add_f64 v[176:177], v[186:187], v[176:177]
	v_fma_f64 v[200:201], v[68:69], s[10:11], v[188:189]
	v_fma_f64 v[68:69], v[68:69], s[10:11], -v[188:189]
	v_add_f64 v[174:175], v[174:175], v[190:191]
	v_mul_f64 v[188:189], v[184:185], s[34:35]
	v_fma_f64 v[186:187], v[58:59], s[22:23], -v[62:63]
	v_add_f64 v[66:67], v[66:67], v[74:75]
	v_fma_f64 v[190:191], v[60:61], s[22:23], v[64:65]
	v_mul_f64 v[74:75], v[198:199], s[34:35]
	v_fma_f64 v[62:63], v[58:59], s[22:23], v[62:63]
	v_fma_f64 v[64:65], v[60:61], s[22:23], -v[64:65]
	v_add_f64 v[68:69], v[68:69], v[76:77]
	v_add_f64 v[178:179], v[182:183], v[178:179]
	;; [unrolled: 1-line block ×3, first 2 shown]
	v_fma_f64 v[114:115], v[58:59], s[6:7], -v[188:189]
	v_add_f64 v[116:117], v[190:191], v[116:117]
	v_mul_f64 v[186:187], v[184:185], s[18:19]
	v_fma_f64 v[190:191], v[60:61], s[6:7], v[74:75]
	v_add_f64 v[62:63], v[62:63], v[72:73]
	v_mul_f64 v[72:73], v[198:199], s[18:19]
	v_add_f64 v[64:65], v[64:65], v[70:71]
	v_fma_f64 v[70:71], v[58:59], s[6:7], v[188:189]
	v_add_f64 v[182:183], v[194:195], v[192:193]
	v_add_f64 v[102:103], v[114:115], v[102:103]
	v_fma_f64 v[74:75], v[60:61], s[6:7], -v[74:75]
	v_fma_f64 v[114:115], v[58:59], s[10:11], -v[186:187]
	v_add_f64 v[188:189], v[190:191], v[112:113]
	v_mul_f64 v[112:113], v[184:185], s[44:45]
	v_fma_f64 v[190:191], v[60:61], s[10:11], v[72:73]
	v_mul_f64 v[192:193], v[198:199], s[44:45]
	v_add_f64 v[70:71], v[70:71], v[122:123]
	v_fma_f64 v[122:123], v[58:59], s[10:11], v[186:187]
	v_add_f64 v[74:75], v[74:75], v[120:121]
	v_add_f64 v[114:115], v[114:115], v[154:155]
	v_fma_f64 v[72:73], v[60:61], s[10:11], -v[72:73]
	v_fma_f64 v[120:121], v[58:59], s[28:29], -v[112:113]
	v_add_f64 v[154:155], v[190:191], v[156:157]
	v_fma_f64 v[156:157], v[60:61], s[28:29], v[192:193]
	v_fma_f64 v[112:113], v[58:59], s[28:29], v[112:113]
	v_add_f64 v[186:187], v[122:123], v[78:79]
	v_fma_f64 v[78:79], v[60:61], s[28:29], -v[192:193]
	v_mul_f64 v[122:123], v[184:185], s[36:37]
	v_add_f64 v[72:73], v[72:73], v[118:119]
	v_add_f64 v[120:121], v[120:121], v[158:159]
	v_mul_f64 v[118:119], v[184:185], s[16:17]
	v_add_f64 v[156:157], v[156:157], v[168:169]
	v_add_f64 v[108:109], v[112:113], v[108:109]
	v_mul_f64 v[112:113], v[198:199], s[36:37]
	v_add_f64 v[158:159], v[78:79], v[180:181]
	v_fma_f64 v[78:79], v[58:59], s[4:5], -v[122:123]
	v_mul_f64 v[168:169], v[198:199], s[16:17]
	v_add_f64 v[184:185], v[50:51], -v[56:57]
	v_add_f64 v[172:173], v[208:209], v[172:173]
	v_fma_f64 v[122:123], v[58:59], s[4:5], v[122:123]
	v_fma_f64 v[180:181], v[58:59], s[14:15], -v[118:119]
	v_fma_f64 v[58:59], v[58:59], s[14:15], v[118:119]
	v_fma_f64 v[118:119], v[60:61], s[4:5], v[112:113]
	v_add_f64 v[190:191], v[48:49], -v[54:55]
	v_fma_f64 v[112:113], v[60:61], s[4:5], -v[112:113]
	v_fma_f64 v[192:193], v[60:61], s[14:15], v[168:169]
	v_fma_f64 v[60:61], v[60:61], s[14:15], -v[168:169]
	v_add_f64 v[168:169], v[78:79], v[176:177]
	v_add_f64 v[176:177], v[48:49], v[54:55]
	v_mul_f64 v[48:49], v[184:185], s[24:25]
	v_add_f64 v[172:173], v[200:201], v[172:173]
	v_add_f64 v[194:195], v[50:51], v[56:57]
	v_mul_f64 v[50:51], v[190:191], s[24:25]
	v_add_f64 v[170:171], v[204:205], v[170:171]
	v_add_f64 v[180:181], v[180:181], v[182:183]
	;; [unrolled: 1-line block ×3, first 2 shown]
	v_mul_f64 v[58:59], v[184:185], s[36:37]
	v_fma_f64 v[54:55], v[176:177], s[28:29], -v[48:49]
	v_fma_f64 v[48:49], v[176:177], s[28:29], v[48:49]
	v_add_f64 v[172:173], v[192:193], v[172:173]
	v_fma_f64 v[56:57], v[194:195], s[28:29], v[50:51]
	v_add_f64 v[192:193], v[60:61], v[68:69]
	v_fma_f64 v[50:51], v[194:195], s[28:29], -v[50:51]
	v_mul_f64 v[60:61], v[190:191], s[36:37]
	v_add_f64 v[66:67], v[2:3], v[44:45]
	v_add_f64 v[170:171], v[196:197], v[170:171]
	;; [unrolled: 1-line block ×7, first 2 shown]
	v_fma_f64 v[56:57], v[176:177], s[4:5], -v[58:59]
	v_add_f64 v[54:55], v[50:51], v[64:65]
	v_fma_f64 v[50:51], v[194:195], s[4:5], v[60:61]
	v_fma_f64 v[58:59], v[176:177], s[4:5], v[58:59]
	v_add_f64 v[62:63], v[66:67], v[40:41]
	v_mul_f64 v[64:65], v[184:185], s[20:21]
	v_fma_f64 v[60:61], v[194:195], s[4:5], -v[60:61]
	v_add_f64 v[66:67], v[48:49], v[42:43]
	v_add_f64 v[170:171], v[118:119], v[170:171]
	;; [unrolled: 1-line block ×3, first 2 shown]
	v_mul_f64 v[68:69], v[190:191], s[20:21]
	v_add_f64 v[56:57], v[50:51], v[188:189]
	v_add_f64 v[48:49], v[58:59], v[70:71]
	v_add_f64 v[50:51], v[62:63], v[36:37]
	v_fma_f64 v[62:63], v[176:177], s[22:23], -v[64:65]
	v_add_f64 v[58:59], v[60:61], v[74:75]
	v_add_f64 v[60:61], v[66:67], v[38:39]
	;; [unrolled: 1-line block ×3, first 2 shown]
	v_mul_f64 v[66:67], v[184:185], s[42:43]
	v_fma_f64 v[70:71], v[194:195], s[22:23], v[68:69]
	v_fma_f64 v[64:65], v[176:177], s[22:23], v[64:65]
	v_add_f64 v[76:77], v[50:51], v[32:33]
	v_add_f64 v[122:123], v[62:63], v[114:115]
	v_fma_f64 v[62:63], v[194:195], s[22:23], -v[68:69]
	v_add_f64 v[68:69], v[60:61], v[34:35]
	v_mul_f64 v[74:75], v[190:191], s[42:43]
	v_fma_f64 v[102:103], v[176:177], s[10:11], -v[66:67]
	v_add_f64 v[60:61], v[70:71], v[154:155]
	v_add_f64 v[50:51], v[64:65], v[186:187]
	;; [unrolled: 1-line block ×3, first 2 shown]
	v_fma_f64 v[66:67], v[176:177], s[10:11], v[66:67]
	v_add_f64 v[62:63], v[62:63], v[72:73]
	v_add_f64 v[68:69], v[68:69], v[30:31]
	v_fma_f64 v[64:65], v[194:195], s[10:11], v[74:75]
	v_add_f64 v[114:115], v[102:103], v[120:121]
	v_fma_f64 v[72:73], v[194:195], s[10:11], -v[74:75]
	v_mul_f64 v[74:75], v[184:185], s[16:17]
	v_add_f64 v[70:71], v[70:71], v[24:25]
	v_mul_f64 v[102:103], v[190:191], s[16:17]
	v_add_f64 v[108:109], v[66:67], v[108:109]
	v_add_f64 v[68:69], v[68:69], v[26:27]
	v_mul_f64 v[110:111], v[190:191], s[34:35]
	v_add_f64 v[64:65], v[64:65], v[156:157]
	v_add_f64 v[66:67], v[72:73], v[158:159]
	v_fma_f64 v[72:73], v[176:177], s[14:15], -v[74:75]
	v_add_f64 v[70:71], v[70:71], v[20:21]
	v_fma_f64 v[154:155], v[194:195], s[14:15], v[102:103]
	v_fma_f64 v[74:75], v[176:177], s[14:15], v[74:75]
	v_add_f64 v[68:69], v[68:69], v[22:23]
	v_fma_f64 v[102:103], v[194:195], s[14:15], -v[102:103]
	v_mul_f64 v[76:77], v[184:185], s[34:35]
	v_fma_f64 v[156:157], v[194:195], s[6:7], v[110:111]
	v_add_f64 v[120:121], v[72:73], v[168:169]
	v_add_f64 v[70:71], v[70:71], v[16:17]
	v_fma_f64 v[158:159], v[194:195], s[6:7], -v[110:111]
	v_add_f64 v[110:111], v[74:75], v[178:179]
	v_add_f64 v[72:73], v[68:69], v[18:19]
	;; [unrolled: 1-line block ×3, first 2 shown]
	v_add_f64 v[154:155], v[46:47], -v[10:11]
	v_add_f64 v[168:169], v[44:45], -v[4:5]
	v_add_f64 v[170:171], v[44:45], v[4:5]
	v_add_f64 v[74:75], v[70:71], v[12:13]
	;; [unrolled: 1-line block ×3, first 2 shown]
	v_fma_f64 v[116:117], v[176:177], s[6:7], -v[76:77]
	v_add_f64 v[102:103], v[72:73], v[14:15]
	v_fma_f64 v[76:77], v[176:177], s[6:7], v[76:77]
	v_mul_f64 v[174:175], v[154:155], s[18:19]
	v_add_f64 v[46:47], v[46:47], v[10:11]
	v_mul_f64 v[176:177], v[168:169], s[18:19]
	v_add_f64 v[4:5], v[74:75], v[4:5]
	v_add_f64 v[72:73], v[156:157], v[172:173]
	;; [unrolled: 1-line block ×4, first 2 shown]
	v_mul_f64 v[102:103], v[154:155], s[16:17]
	v_fma_f64 v[156:157], v[170:171], s[10:11], -v[174:175]
	v_add_f64 v[44:45], v[76:77], v[182:183]
	v_fma_f64 v[158:159], v[46:47], s[10:11], v[176:177]
	v_add_f64 v[4:5], v[4:5], v[8:9]
	v_mul_f64 v[8:9], v[168:169], s[16:17]
	v_fma_f64 v[172:173], v[170:171], s[10:11], v[174:175]
	v_add_f64 v[76:77], v[10:11], v[6:7]
	v_fma_f64 v[6:7], v[46:47], s[10:11], -v[176:177]
	v_fma_f64 v[10:11], v[170:171], s[14:15], -v[102:103]
	v_add_f64 v[124:125], v[156:157], v[124:125]
	v_mul_f64 v[156:157], v[154:155], s[24:25]
	v_add_f64 v[148:149], v[158:159], v[148:149]
	v_fma_f64 v[158:159], v[46:47], s[14:15], v[8:9]
	v_add_f64 v[100:101], v[172:173], v[100:101]
	v_mul_f64 v[172:173], v[168:169], s[24:25]
	v_add_f64 v[6:7], v[6:7], v[146:147]
	v_add_f64 v[10:11], v[10:11], v[98:99]
	v_fma_f64 v[98:99], v[170:171], s[14:15], v[102:103]
	v_fma_f64 v[102:103], v[170:171], s[28:29], -v[156:157]
	v_mul_f64 v[146:147], v[154:155], s[38:39]
	v_fma_f64 v[8:9], v[46:47], s[14:15], -v[8:9]
	v_add_f64 v[144:145], v[158:159], v[144:145]
	v_fma_f64 v[158:159], v[46:47], s[28:29], v[172:173]
	v_mul_f64 v[174:175], v[168:169], s[38:39]
	v_fma_f64 v[156:157], v[170:171], s[28:29], v[156:157]
	v_add_f64 v[94:95], v[98:99], v[94:95]
	v_add_f64 v[96:97], v[102:103], v[96:97]
	v_fma_f64 v[102:103], v[170:171], s[22:23], -v[146:147]
	v_add_f64 v[8:9], v[8:9], v[142:143]
	v_fma_f64 v[98:99], v[46:47], s[28:29], -v[172:173]
	v_add_f64 v[140:141], v[158:159], v[140:141]
	v_fma_f64 v[142:143], v[46:47], s[22:23], v[174:175]
	v_add_f64 v[90:91], v[156:157], v[90:91]
	v_fma_f64 v[146:147], v[170:171], s[22:23], v[146:147]
	v_fma_f64 v[156:157], v[46:47], s[22:23], -v[174:175]
	v_mul_f64 v[158:159], v[154:155], s[34:35]
	v_add_f64 v[86:87], v[102:103], v[86:87]
	v_mul_f64 v[102:103], v[154:155], s[36:37]
	v_add_f64 v[98:99], v[98:99], v[136:137]
	v_add_f64 v[136:137], v[142:143], v[138:139]
	v_mul_f64 v[138:139], v[168:169], s[34:35]
	v_add_f64 v[82:83], v[146:147], v[82:83]
	v_add_f64 v[134:135], v[156:157], v[134:135]
	v_fma_f64 v[142:143], v[170:171], s[6:7], -v[158:159]
	v_mul_f64 v[146:147], v[168:169], s[36:37]
	v_fma_f64 v[154:155], v[170:171], s[6:7], v[158:159]
	v_fma_f64 v[156:157], v[170:171], s[4:5], -v[102:103]
	v_fma_f64 v[102:103], v[170:171], s[4:5], v[102:103]
	v_add_f64 v[168:169], v[42:43], -v[14:15]
	v_add_f64 v[170:171], v[40:41], -v[12:13]
	v_fma_f64 v[158:159], v[46:47], s[6:7], v[138:139]
	v_fma_f64 v[138:139], v[46:47], s[6:7], -v[138:139]
	v_add_f64 v[14:15], v[42:43], v[14:15]
	v_add_f64 v[12:13], v[40:41], v[12:13]
	v_fma_f64 v[172:173], v[46:47], s[4:5], v[146:147]
	v_fma_f64 v[46:47], v[46:47], s[4:5], -v[146:147]
	v_mul_f64 v[40:41], v[168:169], s[26:27]
	v_mul_f64 v[42:43], v[170:171], s[26:27]
	v_add_f64 v[92:93], v[142:143], v[92:93]
	v_add_f64 v[128:129], v[138:139], v[128:129]
	v_mul_f64 v[138:139], v[168:169], s[24:25]
	v_add_f64 v[80:81], v[102:103], v[80:81]
	v_mul_f64 v[102:103], v[170:171], s[24:25]
	v_add_f64 v[46:47], v[46:47], v[126:127]
	v_fma_f64 v[142:143], v[12:13], s[6:7], -v[40:41]
	v_fma_f64 v[146:147], v[14:15], s[6:7], v[42:43]
	v_fma_f64 v[40:41], v[12:13], s[6:7], v[40:41]
	v_fma_f64 v[42:43], v[14:15], s[6:7], -v[42:43]
	v_fma_f64 v[126:127], v[12:13], s[28:29], -v[138:139]
	v_add_f64 v[88:89], v[154:155], v[88:89]
	v_mul_f64 v[154:155], v[170:171], s[36:37]
	v_add_f64 v[130:131], v[158:159], v[130:131]
	v_add_f64 v[124:125], v[142:143], v[124:125]
	;; [unrolled: 1-line block ×3, first 2 shown]
	v_mul_f64 v[146:147], v[168:169], s[40:41]
	v_fma_f64 v[148:149], v[14:15], s[28:29], v[102:103]
	v_add_f64 v[40:41], v[40:41], v[100:101]
	v_mul_f64 v[100:101], v[170:171], s[40:41]
	v_add_f64 v[6:7], v[42:43], v[6:7]
	v_add_f64 v[10:11], v[126:127], v[10:11]
	v_fma_f64 v[42:43], v[12:13], s[28:29], v[138:139]
	v_fma_f64 v[102:103], v[14:15], s[28:29], -v[102:103]
	v_fma_f64 v[126:127], v[12:13], s[14:15], -v[146:147]
	v_add_f64 v[138:139], v[148:149], v[144:145]
	v_mul_f64 v[144:145], v[168:169], s[36:37]
	v_fma_f64 v[148:149], v[14:15], s[14:15], v[100:101]
	v_fma_f64 v[146:147], v[12:13], s[14:15], v[146:147]
	v_add_f64 v[84:85], v[156:157], v[84:85]
	v_add_f64 v[42:43], v[42:43], v[94:95]
	;; [unrolled: 1-line block ×4, first 2 shown]
	v_fma_f64 v[96:97], v[14:15], s[14:15], -v[100:101]
	v_fma_f64 v[100:101], v[12:13], s[4:5], -v[144:145]
	v_add_f64 v[102:103], v[148:149], v[140:141]
	v_fma_f64 v[126:127], v[14:15], s[4:5], v[154:155]
	v_fma_f64 v[140:141], v[12:13], s[4:5], v[144:145]
	v_add_f64 v[90:91], v[146:147], v[90:91]
	v_fma_f64 v[144:145], v[14:15], s[4:5], -v[154:155]
	v_mul_f64 v[146:147], v[168:169], s[18:19]
	v_add_f64 v[96:97], v[96:97], v[98:99]
	v_add_f64 v[86:87], v[100:101], v[86:87]
	v_mul_f64 v[98:99], v[168:169], s[20:21]
	v_add_f64 v[100:101], v[126:127], v[136:137]
	v_mul_f64 v[126:127], v[170:171], s[18:19]
	v_add_f64 v[82:83], v[140:141], v[82:83]
	v_mul_f64 v[140:141], v[170:171], s[20:21]
	v_add_f64 v[148:149], v[38:39], -v[18:19]
	v_add_f64 v[154:155], v[36:37], -v[16:17]
	v_add_f64 v[132:133], v[172:173], v[132:133]
	v_add_f64 v[134:135], v[144:145], v[134:135]
	v_fma_f64 v[136:137], v[12:13], s[10:11], -v[146:147]
	v_fma_f64 v[144:145], v[12:13], s[10:11], v[146:147]
	v_fma_f64 v[146:147], v[12:13], s[22:23], -v[98:99]
	v_fma_f64 v[12:13], v[12:13], s[22:23], v[98:99]
	v_fma_f64 v[98:99], v[14:15], s[10:11], v[126:127]
	v_fma_f64 v[126:127], v[14:15], s[10:11], -v[126:127]
	v_fma_f64 v[156:157], v[14:15], s[22:23], v[140:141]
	v_add_f64 v[18:19], v[38:39], v[18:19]
	v_add_f64 v[16:17], v[36:37], v[16:17]
	v_mul_f64 v[36:37], v[148:149], s[16:17]
	v_mul_f64 v[38:39], v[154:155], s[16:17]
	v_fma_f64 v[14:15], v[14:15], s[22:23], -v[140:141]
	v_add_f64 v[92:93], v[136:137], v[92:93]
	v_add_f64 v[98:99], v[98:99], v[130:131]
	;; [unrolled: 1-line block ×4, first 2 shown]
	v_mul_f64 v[130:131], v[148:149], s[38:39]
	v_fma_f64 v[132:133], v[16:17], s[14:15], -v[36:37]
	v_fma_f64 v[136:137], v[18:19], s[14:15], v[38:39]
	v_add_f64 v[12:13], v[12:13], v[80:81]
	v_mul_f64 v[80:81], v[154:155], s[38:39]
	v_fma_f64 v[36:37], v[16:17], s[14:15], v[36:37]
	v_add_f64 v[14:15], v[14:15], v[46:47]
	v_fma_f64 v[38:39], v[18:19], s[14:15], -v[38:39]
	v_fma_f64 v[46:47], v[16:17], s[22:23], -v[130:131]
	v_add_f64 v[124:125], v[132:133], v[124:125]
	v_add_f64 v[132:133], v[136:137], v[142:143]
	v_mul_f64 v[136:137], v[148:149], s[36:37]
	v_fma_f64 v[140:141], v[18:19], s[22:23], v[80:81]
	v_add_f64 v[36:37], v[36:37], v[40:41]
	v_mul_f64 v[40:41], v[154:155], s[36:37]
	v_add_f64 v[6:7], v[38:39], v[6:7]
	v_add_f64 v[10:11], v[46:47], v[10:11]
	v_fma_f64 v[38:39], v[16:17], s[22:23], v[130:131]
	v_fma_f64 v[46:47], v[18:19], s[22:23], -v[80:81]
	v_fma_f64 v[80:81], v[16:17], s[4:5], -v[136:137]
	v_add_f64 v[130:131], v[140:141], v[138:139]
	v_mul_f64 v[138:139], v[148:149], s[26:27]
	v_mul_f64 v[142:143], v[154:155], s[26:27]
	v_fma_f64 v[136:137], v[16:17], s[4:5], v[136:137]
	v_fma_f64 v[140:141], v[18:19], s[4:5], v[40:41]
	v_add_f64 v[38:39], v[38:39], v[42:43]
	v_add_f64 v[8:9], v[46:47], v[8:9]
	;; [unrolled: 1-line block ×3, first 2 shown]
	v_fma_f64 v[40:41], v[18:19], s[4:5], -v[40:41]
	v_fma_f64 v[46:47], v[16:17], s[6:7], -v[138:139]
	v_fma_f64 v[94:95], v[18:19], s[6:7], v[142:143]
	v_add_f64 v[90:91], v[136:137], v[90:91]
	v_fma_f64 v[136:137], v[18:19], s[6:7], -v[142:143]
	v_add_f64 v[80:81], v[140:141], v[102:103]
	v_fma_f64 v[102:103], v[16:17], s[6:7], v[138:139]
	v_mul_f64 v[138:139], v[148:149], s[44:45]
	v_add_f64 v[40:41], v[40:41], v[96:97]
	v_add_f64 v[46:47], v[46:47], v[86:87]
	v_mul_f64 v[86:87], v[148:149], s[42:43]
	v_add_f64 v[94:95], v[94:95], v[100:101]
	v_mul_f64 v[96:97], v[154:155], s[44:45]
	;; [unrolled: 2-line block ×3, first 2 shown]
	v_add_f64 v[140:141], v[34:35], -v[22:23]
	v_add_f64 v[142:143], v[32:33], -v[20:21]
	v_add_f64 v[88:89], v[144:145], v[88:89]
	v_add_f64 v[82:83], v[102:103], v[82:83]
	v_fma_f64 v[102:103], v[16:17], s[28:29], -v[138:139]
	v_fma_f64 v[136:137], v[16:17], s[28:29], v[138:139]
	v_fma_f64 v[138:139], v[16:17], s[10:11], -v[86:87]
	v_fma_f64 v[16:17], v[16:17], s[10:11], v[86:87]
	v_fma_f64 v[86:87], v[18:19], s[28:29], v[96:97]
	v_fma_f64 v[96:97], v[18:19], s[28:29], -v[96:97]
	v_fma_f64 v[144:145], v[18:19], s[10:11], v[134:135]
	v_add_f64 v[22:23], v[34:35], v[22:23]
	v_add_f64 v[20:21], v[32:33], v[20:21]
	v_mul_f64 v[32:33], v[140:141], s[20:21]
	v_mul_f64 v[34:35], v[142:143], s[20:21]
	v_fma_f64 v[18:19], v[18:19], s[10:11], -v[134:135]
	v_add_f64 v[86:87], v[86:87], v[98:99]
	v_add_f64 v[96:97], v[96:97], v[126:127]
	v_add_f64 v[98:99], v[144:145], v[128:129]
	v_add_f64 v[12:13], v[16:17], v[12:13]
	v_mul_f64 v[16:17], v[142:143], s[34:35]
	v_fma_f64 v[126:127], v[20:21], s[22:23], -v[32:33]
	v_fma_f64 v[128:129], v[22:23], s[22:23], v[34:35]
	v_add_f64 v[92:93], v[102:103], v[92:93]
	v_mul_f64 v[102:103], v[140:141], s[34:35]
	v_fma_f64 v[32:33], v[20:21], s[22:23], v[32:33]
	v_add_f64 v[14:15], v[18:19], v[14:15]
	v_fma_f64 v[18:19], v[22:23], s[22:23], -v[34:35]
	v_mul_f64 v[134:135], v[142:143], s[44:45]
	v_add_f64 v[124:125], v[126:127], v[124:125]
	v_add_f64 v[126:127], v[128:129], v[132:133]
	v_fma_f64 v[132:133], v[22:23], s[6:7], v[16:17]
	v_fma_f64 v[34:35], v[20:21], s[6:7], -v[102:103]
	v_mul_f64 v[128:129], v[140:141], s[18:19]
	v_add_f64 v[32:33], v[32:33], v[36:37]
	v_mul_f64 v[36:37], v[142:143], s[18:19]
	v_add_f64 v[18:19], v[18:19], v[6:7]
	v_fma_f64 v[6:7], v[20:21], s[6:7], v[102:103]
	v_fma_f64 v[16:17], v[22:23], s[6:7], -v[16:17]
	v_add_f64 v[102:103], v[132:133], v[130:131]
	v_mul_f64 v[130:131], v[140:141], s[44:45]
	v_add_f64 v[10:11], v[34:35], v[10:11]
	v_fma_f64 v[34:35], v[20:21], s[10:11], -v[128:129]
	v_fma_f64 v[132:133], v[22:23], s[10:11], v[36:37]
	v_fma_f64 v[128:129], v[20:21], s[10:11], v[128:129]
	v_add_f64 v[38:39], v[6:7], v[38:39]
	v_add_f64 v[16:17], v[16:17], v[8:9]
	v_fma_f64 v[6:7], v[22:23], s[10:11], -v[36:37]
	v_fma_f64 v[8:9], v[20:21], s[28:29], -v[130:131]
	v_add_f64 v[84:85], v[146:147], v[84:85]
	v_add_f64 v[34:35], v[34:35], v[42:43]
	;; [unrolled: 1-line block ×4, first 2 shown]
	v_fma_f64 v[80:81], v[22:23], s[28:29], v[134:135]
	v_fma_f64 v[90:91], v[20:21], s[28:29], v[130:131]
	v_fma_f64 v[128:129], v[22:23], s[28:29], -v[134:135]
	v_mul_f64 v[130:131], v[140:141], s[36:37]
	v_add_f64 v[40:41], v[6:7], v[40:41]
	v_add_f64 v[46:47], v[8:9], v[46:47]
	v_mul_f64 v[6:7], v[140:141], s[16:17]
	v_mul_f64 v[8:9], v[142:143], s[36:37]
	v_add_f64 v[94:95], v[80:81], v[94:95]
	v_add_f64 v[132:133], v[90:91], v[82:83]
	;; [unrolled: 1-line block ×3, first 2 shown]
	v_fma_f64 v[80:81], v[20:21], s[4:5], -v[130:131]
	v_mul_f64 v[82:83], v[142:143], s[16:17]
	v_fma_f64 v[90:91], v[20:21], s[4:5], v[130:131]
	v_fma_f64 v[128:129], v[20:21], s[14:15], -v[6:7]
	v_fma_f64 v[130:131], v[22:23], s[4:5], v[8:9]
	v_fma_f64 v[6:7], v[20:21], s[14:15], v[6:7]
	v_fma_f64 v[8:9], v[22:23], s[4:5], -v[8:9]
	v_add_f64 v[20:21], v[30:31], -v[26:27]
	v_add_f64 v[134:135], v[28:29], -v[24:25]
	v_add_f64 v[88:89], v[136:137], v[88:89]
	v_fma_f64 v[136:137], v[22:23], s[14:15], v[82:83]
	v_fma_f64 v[22:23], v[22:23], s[14:15], -v[82:83]
	v_add_f64 v[30:31], v[30:31], v[26:27]
	v_add_f64 v[28:29], v[28:29], v[24:25]
	;; [unrolled: 1-line block ×3, first 2 shown]
	v_mul_f64 v[24:25], v[20:21], s[24:25]
	v_mul_f64 v[26:27], v[134:135], s[24:25]
	v_mul_f64 v[8:9], v[20:21], s[36:37]
	v_add_f64 v[84:85], v[138:139], v[84:85]
	v_add_f64 v[138:139], v[80:81], v[92:93]
	;; [unrolled: 1-line block ×5, first 2 shown]
	v_fma_f64 v[80:81], v[28:29], s[28:29], -v[24:25]
	v_fma_f64 v[82:83], v[30:31], s[28:29], v[26:27]
	v_fma_f64 v[6:7], v[28:29], s[28:29], v[24:25]
	v_fma_f64 v[12:13], v[30:31], s[28:29], -v[26:27]
	v_fma_f64 v[14:15], v[28:29], s[4:5], -v[8:9]
	v_mul_f64 v[88:89], v[134:135], s[20:21]
	v_add_f64 v[130:131], v[130:131], v[86:87]
	v_mul_f64 v[86:87], v[134:135], s[36:37]
	v_add_f64 v[24:25], v[80:81], v[124:125]
	v_add_f64 v[80:81], v[82:83], v[126:127]
	v_mul_f64 v[26:27], v[20:21], s[20:21]
	v_add_f64 v[6:7], v[6:7], v[32:33]
	v_add_f64 v[82:83], v[12:13], v[18:19]
	;; [unrolled: 1-line block ×3, first 2 shown]
	v_fma_f64 v[14:15], v[30:31], s[22:23], v[88:89]
	v_mul_f64 v[32:33], v[134:135], s[42:43]
	v_fma_f64 v[22:23], v[30:31], s[4:5], v[86:87]
	v_fma_f64 v[10:11], v[30:31], s[4:5], -v[86:87]
	v_fma_f64 v[12:13], v[28:29], s[22:23], -v[26:27]
	v_fma_f64 v[90:91], v[28:29], s[22:23], v[26:27]
	v_fma_f64 v[92:93], v[30:31], s[22:23], -v[88:89]
	v_add_f64 v[128:129], v[128:129], v[84:85]
	v_add_f64 v[88:89], v[14:15], v[36:37]
	v_fma_f64 v[14:15], v[30:31], s[10:11], v[32:33]
	v_add_f64 v[84:85], v[22:23], v[102:103]
	v_mul_f64 v[22:23], v[20:21], s[42:43]
	v_add_f64 v[86:87], v[10:11], v[16:17]
	v_add_f64 v[26:27], v[12:13], v[34:35]
	;; [unrolled: 1-line block ×4, first 2 shown]
	v_fma_f64 v[32:33], v[30:31], s[10:11], -v[32:33]
	v_mul_f64 v[34:35], v[20:21], s[16:17]
	v_mul_f64 v[36:37], v[134:135], s[16:17]
	v_add_f64 v[92:93], v[14:15], v[94:95]
	v_mul_f64 v[14:15], v[20:21], s[34:35]
	v_mul_f64 v[20:21], v[134:135], s[34:35]
	v_fma_f64 v[12:13], v[28:29], s[10:11], -v[22:23]
	v_fma_f64 v[16:17], v[28:29], s[10:11], v[22:23]
	v_fma_f64 v[8:9], v[28:29], s[4:5], v[8:9]
	v_add_f64 v[94:95], v[32:33], v[100:101]
	v_fma_f64 v[32:33], v[30:31], s[14:15], v[36:37]
	v_fma_f64 v[36:37], v[30:31], s[14:15], -v[36:37]
	v_fma_f64 v[42:43], v[28:29], s[6:7], v[14:15]
	v_fma_f64 v[40:41], v[30:31], s[6:7], v[20:21]
	v_fma_f64 v[30:31], v[30:31], s[6:7], -v[20:21]
	v_add_f64 v[22:23], v[12:13], v[46:47]
	v_add_f64 v[12:13], v[16:17], v[132:133]
	v_fma_f64 v[16:17], v[28:29], s[14:15], -v[34:35]
	v_add_f64 v[8:9], v[8:9], v[38:39]
	v_fma_f64 v[38:39], v[28:29], s[6:7], -v[14:15]
	v_fma_f64 v[34:35], v[28:29], s[14:15], v[34:35]
	v_add_f64 v[116:117], v[116:117], v[180:181]
	v_add_f64 v[136:137], v[136:137], v[98:99]
	;; [unrolled: 1-line block ×3, first 2 shown]
	v_lshrrev_b32_e32 v30, 1, v104
	v_mul_u32_u24_e32 v30, 26, v30
	v_add_f64 v[28:29], v[16:17], v[138:139]
	v_or_b32_e32 v30, v30, v153
	v_add_f64 v[16:17], v[38:39], v[128:129]
	v_add_f64 v[20:21], v[42:43], v[144:145]
	v_lshl_add_u32 v124, v30, 3, 0
	v_add_f64 v[14:15], v[34:35], v[140:141]
	s_waitcnt lgkmcnt(0)
	; wave barrier
	ds_write2_b64 v124, v[0:1], v[112:113] offset1:2
	ds_write2_b64 v124, v[118:119], v[122:123] offset0:4 offset1:6
	ds_write2_b64 v124, v[114:115], v[120:121] offset0:8 offset1:10
	;; [unrolled: 1-line block ×5, first 2 shown]
	ds_write_b64 v124, v[2:3] offset:192
	v_lshrrev_b32_e32 v0, 1, v152
	v_mul_u32_u24_e32 v0, 26, v0
	v_or_b32_e32 v0, v0, v153
	v_add_f64 v[98:99], v[36:37], v[142:143]
	v_lshl_add_u32 v108, v0, 3, 0
	v_subrev_u32_e32 v168, 26, v104
	v_add_f64 v[96:97], v[32:33], v[130:131]
	v_add_f64 v[100:101], v[40:41], v[136:137]
	ds_write2_b64 v108, v[4:5], v[24:25] offset1:2
	ds_write2_b64 v108, v[18:19], v[26:27] offset0:4 offset1:6
	ds_write2_b64 v108, v[22:23], v[28:29] offset0:8 offset1:10
	;; [unrolled: 1-line block ×5, first 2 shown]
	ds_write_b64 v108, v[6:7] offset:192
	s_waitcnt lgkmcnt(0)
	; wave barrier
	s_waitcnt lgkmcnt(0)
	ds_read2_b64 v[0:3], v162 offset1:52
	ds_read2_b64 v[48:51], v162 offset0:104 offset1:156
	ds_read2_b64 v[44:47], v163 offset0:80 offset1:132
	;; [unrolled: 1-line block ×12, first 2 shown]
	s_waitcnt lgkmcnt(0)
	; wave barrier
	s_waitcnt lgkmcnt(0)
	ds_write2_b64 v124, v[52:53], v[78:79] offset1:2
	ds_write2_b64 v124, v[56:57], v[60:61] offset0:4 offset1:6
	ds_write2_b64 v124, v[64:65], v[68:69] offset0:8 offset1:10
	;; [unrolled: 1-line block ×5, first 2 shown]
	ds_write_b64 v124, v[54:55] offset:192
	ds_write2_b64 v108, v[76:77], v[80:81] offset1:2
	ds_write2_b64 v108, v[84:85], v[88:89] offset0:4 offset1:6
	ds_write2_b64 v108, v[92:93], v[96:97] offset0:8 offset1:10
	;; [unrolled: 1-line block ×5, first 2 shown]
	ds_write_b64 v108, v[82:83] offset:192
	v_cndmask_b32_e64 v98, v168, v104, s[2:3]
	v_mul_i32_i24_e32 v52, 12, v98
	v_mov_b32_e32 v53, 0
	v_lshlrev_b64 v[52:53], 4, v[52:53]
	v_mov_b32_e32 v54, s9
	v_add_co_u32_e32 v108, vcc, s8, v52
	v_addc_co_u32_e32 v109, vcc, v54, v53, vcc
	s_waitcnt lgkmcnt(0)
	; wave barrier
	s_waitcnt lgkmcnt(0)
	global_load_dwordx4 v[60:63], v[108:109], off offset:384
	global_load_dwordx4 v[72:75], v[108:109], off offset:400
	v_mul_lo_u16_sdwa v52, v152, s33 dst_sel:DWORD dst_unused:UNUSED_PAD src0_sel:BYTE_0 src1_sel:DWORD
	v_lshrrev_b16_e32 v96, 11, v52
	v_mul_lo_u16_e32 v52, 26, v96
	v_sub_u16_e32 v97, v152, v52
	v_mov_b32_e32 v52, 12
	v_mul_u32_u24_sdwa v52, v97, v52 dst_sel:DWORD dst_unused:UNUSED_PAD src0_sel:BYTE_0 src1_sel:DWORD
	v_lshlrev_b32_e32 v103, 4, v52
	global_load_dwordx4 v[76:79], v103, s[8:9] offset:384
	global_load_dwordx4 v[80:83], v103, s[8:9] offset:400
	global_load_dwordx4 v[84:87], v[108:109], off offset:416
	global_load_dwordx4 v[88:91], v103, s[8:9] offset:416
	global_load_dwordx4 v[99:102], v[108:109], off offset:432
	;; [unrolled: 2-line block ×4, first 2 shown]
	global_load_dwordx4 v[152:155], v[108:109], off offset:480
	global_load_dwordx4 v[156:159], v103, s[8:9] offset:464
	global_load_dwordx4 v[169:172], v103, s[8:9] offset:480
	global_load_dwordx4 v[173:176], v[108:109], off offset:496
	global_load_dwordx4 v[52:55], v103, s[8:9] offset:496
	global_load_dwordx4 v[68:71], v[108:109], off offset:560
	ds_read2_b64 v[92:95], v162 offset0:104 offset1:156
	ds_read2_b64 v[126:129], v163 offset0:80 offset1:132
	global_load_dwordx4 v[56:59], v[108:109], off offset:512
	global_load_dwordx4 v[64:67], v[108:109], off offset:544
	ds_read2_b64 v[177:180], v164 offset0:56 offset1:108
	v_cmp_lt_u32_e32 vcc, 25, v104
	s_waitcnt vmcnt(18) lgkmcnt(2)
	v_mul_f64 v[110:111], v[92:93], v[62:63]
	v_mul_f64 v[62:63], v[48:49], v[62:63]
	s_waitcnt vmcnt(17) lgkmcnt(1)
	v_mul_f64 v[120:121], v[126:127], v[74:75]
	v_mul_f64 v[74:75], v[44:45], v[74:75]
	v_fma_f64 v[140:141], v[48:49], v[60:61], -v[110:111]
	s_waitcnt vmcnt(16)
	v_mul_f64 v[48:49], v[94:95], v[78:79]
	v_fma_f64 v[142:143], v[92:93], v[60:61], v[62:63]
	v_fma_f64 v[138:139], v[44:45], v[72:73], -v[120:121]
	v_mul_f64 v[44:45], v[50:51], v[78:79]
	s_waitcnt vmcnt(15)
	v_mul_f64 v[78:79], v[128:129], v[82:83]
	global_load_dwordx4 v[60:63], v[108:109], off offset:528
	v_fma_f64 v[132:133], v[126:127], v[72:73], v[74:75]
	v_mul_f64 v[72:73], v[46:47], v[82:83]
	v_fma_f64 v[110:111], v[50:51], v[76:77], -v[48:49]
	s_waitcnt vmcnt(15) lgkmcnt(0)
	v_mul_f64 v[74:75], v[177:178], v[86:87]
	ds_read2_b64 v[48:51], v164 offset0:160 offset1:212
	v_fma_f64 v[108:109], v[94:95], v[76:77], v[44:45]
	v_fma_f64 v[94:95], v[46:47], v[80:81], -v[78:79]
	v_mul_f64 v[76:77], v[40:41], v[86:87]
	s_waitcnt vmcnt(14)
	v_mul_f64 v[78:79], v[179:180], v[90:91]
	global_load_dwordx4 v[44:47], v103, s[8:9] offset:512
	v_fma_f64 v[92:93], v[128:129], v[80:81], v[72:73]
	v_fma_f64 v[136:137], v[40:41], v[84:85], -v[74:75]
	v_mul_f64 v[80:81], v[42:43], v[90:91]
	s_waitcnt vmcnt(14) lgkmcnt(0)
	v_mul_f64 v[82:83], v[48:49], v[101:102]
	v_mul_f64 v[86:87], v[36:37], v[101:102]
	v_fma_f64 v[134:135], v[177:178], v[84:85], v[76:77]
	v_fma_f64 v[90:91], v[42:43], v[88:89], -v[78:79]
	global_load_dwordx4 v[40:43], v103, s[8:9] offset:528
	s_waitcnt vmcnt(14)
	v_mul_f64 v[76:77], v[50:51], v[114:115]
	ds_read2_b64 v[72:75], v165 offset0:8 offset1:60
	v_fma_f64 v[88:89], v[179:180], v[88:89], v[80:81]
	v_fma_f64 v[130:131], v[36:37], v[99:100], -v[82:83]
	v_fma_f64 v[128:129], v[48:49], v[99:100], v[86:87]
	v_mul_f64 v[48:49], v[38:39], v[114:115]
	s_waitcnt vmcnt(13) lgkmcnt(0)
	v_mul_f64 v[80:81], v[72:73], v[118:119]
	v_mul_f64 v[82:83], v[32:33], v[118:119]
	v_fma_f64 v[86:87], v[38:39], v[112:113], -v[76:77]
	s_waitcnt vmcnt(12)
	v_mul_f64 v[99:100], v[74:75], v[124:125]
	global_load_dwordx4 v[36:39], v103, s[8:9] offset:544
	ds_read2_b64 v[76:79], v165 offset0:112 offset1:164
	v_mul_f64 v[101:102], v[34:35], v[124:125]
	v_fma_f64 v[84:85], v[50:51], v[112:113], v[48:49]
	v_fma_f64 v[124:125], v[32:33], v[116:117], -v[80:81]
	v_fma_f64 v[120:121], v[72:73], v[116:117], v[82:83]
	ds_read2_b64 v[48:51], v151 offset0:88 offset1:140
	v_fma_f64 v[82:83], v[34:35], v[122:123], -v[99:100]
	global_load_dwordx4 v[32:35], v103, s[8:9] offset:560
	s_waitcnt vmcnt(13) lgkmcnt(1)
	v_mul_f64 v[112:113], v[76:77], v[146:147]
	v_mul_f64 v[118:119], v[28:29], v[146:147]
	s_waitcnt vmcnt(12) lgkmcnt(0)
	v_mul_f64 v[72:73], v[48:49], v[154:155]
	v_fma_f64 v[80:81], v[74:75], v[122:123], v[101:102]
	v_mul_f64 v[74:75], v[24:25], v[154:155]
	s_waitcnt vmcnt(11)
	v_mul_f64 v[122:123], v[30:31], v[158:159]
	ds_read2_b64 v[99:102], v166 offset0:64 offset1:116
	s_waitcnt vmcnt(10)
	v_mul_f64 v[126:127], v[50:51], v[171:172]
	v_fma_f64 v[114:115], v[28:29], v[144:145], -v[112:113]
	v_mul_f64 v[28:29], v[78:79], v[158:159]
	v_fma_f64 v[112:113], v[76:77], v[144:145], v[118:119]
	v_fma_f64 v[118:119], v[24:25], v[152:153], -v[72:73]
	v_mul_f64 v[24:25], v[26:27], v[171:172]
	v_fma_f64 v[116:117], v[48:49], v[152:153], v[74:75]
	s_waitcnt vmcnt(9) lgkmcnt(0)
	v_mul_f64 v[48:49], v[99:100], v[175:176]
	s_waitcnt vmcnt(8)
	v_mul_f64 v[144:145], v[101:102], v[54:55]
	v_fma_f64 v[72:73], v[78:79], v[156:157], v[122:123]
	v_fma_f64 v[76:77], v[30:31], v[156:157], -v[28:29]
	v_mul_f64 v[28:29], v[20:21], v[175:176]
	v_fma_f64 v[78:79], v[26:27], v[169:170], -v[126:127]
	v_fma_f64 v[74:75], v[50:51], v[169:170], v[24:25]
	s_waitcnt vmcnt(7)
	v_mul_f64 v[50:51], v[4:5], v[70:71]
	ds_read2_b64 v[24:27], v150 offset0:96 offset1:148
	v_fma_f64 v[126:127], v[20:21], v[173:174], -v[48:49]
	v_mul_f64 v[48:49], v[22:23], v[54:55]
	v_fma_f64 v[54:55], v[22:23], v[52:53], -v[144:145]
	v_fma_f64 v[122:123], v[99:100], v[173:174], v[28:29]
	ds_read2_b64 v[28:31], v166 offset0:168 offset1:220
	s_waitcnt lgkmcnt(1)
	v_mul_f64 v[99:100], v[24:25], v[70:71]
	v_fma_f64 v[70:71], v[24:25], v[68:69], v[50:51]
	v_add_f64 v[144:145], v[0:1], v[140:141]
	s_waitcnt vmcnt(5)
	v_mul_f64 v[50:51], v[8:9], v[66:67]
	s_waitcnt lgkmcnt(0)
	v_mul_f64 v[24:25], v[28:29], v[58:59]
	ds_read2_b64 v[20:23], v167 offset0:120 offset1:172
	v_mul_f64 v[58:59], v[16:17], v[58:59]
	v_fma_f64 v[52:53], v[101:102], v[52:53], v[48:49]
	v_fma_f64 v[158:159], v[4:5], v[68:69], -v[99:100]
	v_add_f64 v[4:5], v[142:143], -v[70:71]
	s_waitcnt lgkmcnt(0)
	v_mul_f64 v[66:67], v[20:21], v[66:67]
	v_fma_f64 v[150:151], v[20:21], v[64:65], v[50:51]
	v_fma_f64 v[146:147], v[16:17], v[56:57], -v[24:25]
	v_add_f64 v[16:17], v[144:145], v[138:139]
	ds_read2_b64 v[48:51], v167 offset0:16 offset1:68
	s_waitcnt vmcnt(4)
	v_mul_f64 v[20:21], v[12:13], v[62:63]
	v_add_f64 v[24:25], v[140:141], v[158:159]
	v_mul_f64 v[99:100], v[4:5], s[30:31]
	v_fma_f64 v[156:157], v[8:9], v[64:65], -v[66:67]
	s_waitcnt lgkmcnt(0)
	v_mul_f64 v[62:63], v[48:49], v[62:63]
	v_add_f64 v[8:9], v[132:133], -v[150:151]
	v_add_f64 v[16:17], v[16:17], v[136:137]
	v_fma_f64 v[148:149], v[28:29], v[56:57], v[58:59]
	v_fma_f64 v[152:153], v[48:49], v[60:61], v[20:21]
	s_waitcnt vmcnt(3)
	v_mul_f64 v[20:21], v[30:31], v[46:47]
	v_fma_f64 v[28:29], v[24:25], s[4:5], -v[99:100]
	v_add_f64 v[101:102], v[138:139], v[156:157]
	v_fma_f64 v[154:155], v[12:13], v[60:61], -v[62:63]
	v_mul_f64 v[170:171], v[8:9], s[18:19]
	v_add_f64 v[12:13], v[16:17], v[130:131]
	v_mul_f64 v[46:47], v[18:19], v[46:47]
	v_add_f64 v[16:17], v[134:135], -v[152:153]
	v_fma_f64 v[56:57], v[18:19], v[44:45], -v[20:21]
	s_waitcnt vmcnt(2)
	v_mul_f64 v[18:19], v[50:51], v[42:43]
	v_add_f64 v[20:21], v[0:1], v[28:29]
	v_add_f64 v[172:173], v[136:137], v[154:155]
	v_fma_f64 v[28:29], v[101:102], s[10:11], -v[170:171]
	v_add_f64 v[12:13], v[12:13], v[124:125]
	v_fma_f64 v[58:59], v[30:31], v[44:45], v[46:47]
	v_mul_f64 v[174:175], v[16:17], s[26:27]
	v_add_f64 v[30:31], v[128:129], -v[148:149]
	v_mul_f64 v[42:43], v[14:15], v[42:43]
	v_fma_f64 v[60:61], v[14:15], v[40:41], -v[18:19]
	s_waitcnt vmcnt(1)
	v_mul_f64 v[14:15], v[22:23], v[38:39]
	v_add_f64 v[18:19], v[28:29], v[20:21]
	v_add_f64 v[12:13], v[12:13], v[114:115]
	v_add_f64 v[28:29], v[130:131], v[146:147]
	v_fma_f64 v[20:21], v[172:173], s[6:7], -v[174:175]
	v_mul_f64 v[44:45], v[30:31], s[16:17]
	v_fma_f64 v[62:63], v[50:51], v[40:41], v[42:43]
	v_add_f64 v[40:41], v[120:121], -v[122:123]
	v_mul_f64 v[38:39], v[10:11], v[38:39]
	v_fma_f64 v[64:65], v[10:11], v[36:37], -v[14:15]
	v_add_f64 v[10:11], v[12:13], v[118:119]
	s_waitcnt vmcnt(0)
	v_mul_f64 v[12:13], v[26:27], v[34:35]
	v_add_f64 v[14:15], v[20:21], v[18:19]
	v_fma_f64 v[18:19], v[28:29], s[14:15], -v[44:45]
	v_add_f64 v[20:21], v[124:125], v[126:127]
	v_mul_f64 v[42:43], v[40:41], s[20:21]
	v_fma_f64 v[66:67], v[22:23], v[36:37], v[38:39]
	v_add_f64 v[22:23], v[112:113], -v[116:117]
	v_mul_f64 v[36:37], v[4:5], s[18:19]
	v_fma_f64 v[68:69], v[6:7], v[32:33], -v[12:13]
	v_mul_f64 v[12:13], v[4:5], s[26:27]
	v_add_f64 v[10:11], v[10:11], v[126:127]
	v_add_f64 v[14:15], v[18:19], v[14:15]
	v_fma_f64 v[18:19], v[20:21], s[22:23], -v[42:43]
	v_add_f64 v[38:39], v[114:115], v[118:119]
	v_mul_f64 v[46:47], v[22:23], s[24:25]
	v_fma_f64 v[48:49], v[24:25], s[10:11], -v[36:37]
	v_mul_f64 v[176:177], v[8:9], s[16:17]
	v_fma_f64 v[50:51], v[24:25], s[6:7], -v[12:13]
	v_mul_f64 v[178:179], v[8:9], s[24:25]
	v_add_f64 v[10:11], v[10:11], v[146:147]
	v_mul_f64 v[6:7], v[6:7], v[34:35]
	v_add_f64 v[14:15], v[18:19], v[14:15]
	v_fma_f64 v[18:19], v[38:39], s[28:29], -v[46:47]
	v_add_f64 v[34:35], v[0:1], v[48:49]
	v_fma_f64 v[48:49], v[101:102], s[14:15], -v[176:177]
	;; [unrolled: 2-line block ×3, first 2 shown]
	v_mul_f64 v[182:183], v[16:17], s[24:25]
	v_mul_f64 v[184:185], v[16:17], s[40:41]
	v_add_f64 v[10:11], v[10:11], v[154:155]
	v_fma_f64 v[144:145], v[26:27], v[32:33], v[6:7]
	v_add_f64 v[6:7], v[18:19], v[14:15]
	v_add_f64 v[14:15], v[48:49], v[34:35]
	v_mul_f64 v[34:35], v[30:31], s[38:39]
	v_add_f64 v[18:19], v[180:181], v[50:51]
	v_fma_f64 v[26:27], v[172:173], s[28:29], -v[182:183]
	v_fma_f64 v[32:33], v[172:173], s[14:15], -v[184:185]
	v_mul_f64 v[180:181], v[30:31], s[36:37]
	v_add_f64 v[10:11], v[10:11], v[156:157]
	v_mul_f64 v[186:187], v[40:41], s[34:35]
	v_mul_f64 v[188:189], v[40:41], s[18:19]
	;; [unrolled: 1-line block ×4, first 2 shown]
	v_add_f64 v[14:15], v[26:27], v[14:15]
	v_add_f64 v[18:19], v[32:33], v[18:19]
	v_fma_f64 v[26:27], v[28:29], s[22:23], -v[34:35]
	v_fma_f64 v[32:33], v[28:29], s[4:5], -v[180:181]
	v_add_f64 v[10:11], v[10:11], v[158:159]
	v_mul_f64 v[200:201], v[8:9], s[34:35]
	v_fma_f64 v[194:195], v[24:25], s[14:15], -v[190:191]
	v_fma_f64 v[198:199], v[24:25], s[22:23], -v[192:193]
	v_mov_b32_e32 v103, 0xa90
	v_cndmask_b32_e32 v48, 0, v103, vcc
	v_add_f64 v[14:15], v[26:27], v[14:15]
	v_add_f64 v[18:19], v[32:33], v[18:19]
	v_fma_f64 v[26:27], v[20:21], s[6:7], -v[186:187]
	v_fma_f64 v[32:33], v[20:21], s[10:11], -v[188:189]
	v_lshlrev_b32_e32 v49, 3, v98
	v_add3_u32 v169, 0, v48, v49
	ds_read2_b64 v[48:51], v162 offset1:52
	s_waitcnt lgkmcnt(0)
	; wave barrier
	v_mul_f64 v[196:197], v[8:9], s[38:39]
	s_waitcnt lgkmcnt(0)
	ds_write2_b64 v169, v[10:11], v[6:7] offset1:26
	v_add_f64 v[6:7], v[26:27], v[14:15]
	v_add_f64 v[10:11], v[32:33], v[18:19]
	;; [unrolled: 1-line block ×4, first 2 shown]
	v_fma_f64 v[194:195], v[101:102], s[6:7], -v[200:201]
	v_mul_f64 v[198:199], v[16:17], s[18:19]
	v_mul_f64 v[4:5], v[4:5], s[24:25]
	v_fma_f64 v[18:19], v[101:102], s[22:23], -v[196:197]
	v_mul_f64 v[26:27], v[16:17], s[36:37]
	v_mul_f64 v[208:209], v[30:31], s[44:45]
	;; [unrolled: 1-line block ×4, first 2 shown]
	v_add_f64 v[32:33], v[194:195], v[32:33]
	v_fma_f64 v[194:195], v[172:173], s[10:11], -v[198:199]
	v_fma_f64 v[212:213], v[24:25], s[28:29], -v[4:5]
	v_fma_f64 v[4:5], v[24:25], s[28:29], v[4:5]
	v_add_f64 v[14:15], v[18:19], v[14:15]
	v_fma_f64 v[18:19], v[172:173], s[4:5], -v[26:27]
	v_fma_f64 v[216:217], v[101:102], s[4:5], -v[8:9]
	v_mul_f64 v[16:17], v[16:17], s[20:21]
	v_fma_f64 v[8:9], v[101:102], s[4:5], v[8:9]
	v_add_f64 v[32:33], v[194:195], v[32:33]
	v_fma_f64 v[194:195], v[28:29], s[28:29], -v[208:209]
	v_add_f64 v[212:213], v[0:1], v[212:213]
	v_add_f64 v[4:5], v[0:1], v[4:5]
	v_add_f64 v[14:15], v[18:19], v[14:15]
	v_fma_f64 v[18:19], v[28:29], s[6:7], -v[206:207]
	v_mul_f64 v[30:31], v[30:31], s[42:43]
	v_mul_f64 v[218:219], v[40:41], s[36:37]
	v_fma_f64 v[190:191], v[24:25], s[14:15], v[190:191]
	v_add_f64 v[32:33], v[194:195], v[32:33]
	v_add_f64 v[194:195], v[216:217], v[212:213]
	v_fma_f64 v[212:213], v[172:173], s[22:23], -v[16:17]
	v_add_f64 v[4:5], v[8:9], v[4:5]
	v_fma_f64 v[8:9], v[172:173], s[22:23], v[16:17]
	v_add_f64 v[14:15], v[18:19], v[14:15]
	v_mul_f64 v[18:19], v[40:41], s[44:45]
	v_mul_f64 v[40:41], v[40:41], s[16:17]
	v_fma_f64 v[36:37], v[24:25], s[10:11], v[36:37]
	v_fma_f64 v[12:13], v[24:25], s[6:7], v[12:13]
	v_add_f64 v[16:17], v[212:213], v[194:195]
	v_fma_f64 v[194:195], v[28:29], s[10:11], -v[30:31]
	v_add_f64 v[4:5], v[8:9], v[4:5]
	v_fma_f64 v[8:9], v[28:29], s[10:11], v[30:31]
	v_fma_f64 v[26:27], v[172:173], s[4:5], v[26:27]
	v_fma_f64 v[30:31], v[20:21], s[14:15], -v[40:41]
	v_add_f64 v[36:37], v[0:1], v[36:37]
	v_fma_f64 v[176:177], v[101:102], s[14:15], v[176:177]
	v_add_f64 v[12:13], v[0:1], v[12:13]
	v_add_f64 v[16:17], v[194:195], v[16:17]
	v_mul_f64 v[202:203], v[22:23], s[36:37]
	v_add_f64 v[4:5], v[8:9], v[4:5]
	v_fma_f64 v[8:9], v[24:25], s[22:23], v[192:193]
	v_fma_f64 v[192:193], v[101:102], s[6:7], v[200:201]
	;; [unrolled: 1-line block ×3, first 2 shown]
	v_mul_f64 v[204:205], v[22:23], s[20:21]
	v_fma_f64 v[216:217], v[20:21], s[28:29], -v[18:19]
	v_add_f64 v[16:17], v[30:31], v[16:17]
	v_fma_f64 v[30:31], v[20:21], s[14:15], v[40:41]
	v_add_f64 v[40:41], v[0:1], v[190:191]
	v_fma_f64 v[190:191], v[101:102], s[22:23], v[196:197]
	v_add_f64 v[8:9], v[0:1], v[8:9]
	v_add_f64 v[0:1], v[0:1], v[24:25]
	v_fma_f64 v[24:25], v[28:29], s[28:29], v[208:209]
	v_fma_f64 v[220:221], v[20:21], s[4:5], -v[218:219]
	v_mul_f64 v[222:223], v[22:23], s[42:43]
	v_mul_f64 v[224:225], v[22:23], s[16:17]
	;; [unrolled: 1-line block ×3, first 2 shown]
	v_add_f64 v[40:41], v[190:191], v[40:41]
	v_add_f64 v[8:9], v[192:193], v[8:9]
	v_fma_f64 v[190:191], v[172:173], s[10:11], v[198:199]
	v_add_f64 v[36:37], v[176:177], v[36:37]
	v_fma_f64 v[98:99], v[172:173], s[28:29], v[182:183]
	v_fma_f64 v[18:19], v[20:21], s[28:29], v[18:19]
	v_fma_f64 v[210:211], v[38:39], s[4:5], -v[202:203]
	v_fma_f64 v[214:215], v[38:39], s[22:23], -v[204:205]
	v_add_f64 v[26:27], v[26:27], v[40:41]
	v_fma_f64 v[40:41], v[28:29], s[6:7], v[206:207]
	v_add_f64 v[8:9], v[190:191], v[8:9]
	v_add_f64 v[14:15], v[216:217], v[14:15]
	;; [unrolled: 1-line block ×3, first 2 shown]
	v_fma_f64 v[212:213], v[38:39], s[10:11], -v[222:223]
	v_fma_f64 v[216:217], v[38:39], s[14:15], -v[224:225]
	v_add_f64 v[4:5], v[30:31], v[4:5]
	v_fma_f64 v[30:31], v[38:39], s[6:7], -v[22:23]
	v_add_f64 v[26:27], v[40:41], v[26:27]
	v_add_f64 v[8:9], v[24:25], v[8:9]
	v_fma_f64 v[24:25], v[20:21], s[4:5], v[218:219]
	v_fma_f64 v[22:23], v[38:39], s[6:7], v[22:23]
	v_add_f64 v[36:37], v[98:99], v[36:37]
	v_fma_f64 v[34:35], v[28:29], s[22:23], v[34:35]
	v_fma_f64 v[98:99], v[28:29], s[4:5], v[180:181]
	v_add_f64 v[6:7], v[210:211], v[6:7]
	v_add_f64 v[18:19], v[18:19], v[26:27]
	v_fma_f64 v[26:27], v[28:29], s[14:15], v[44:45]
	v_add_f64 v[8:9], v[24:25], v[8:9]
	v_fma_f64 v[24:25], v[38:39], s[10:11], v[222:223]
	v_fma_f64 v[28:29], v[38:39], s[14:15], v[224:225]
	v_add_f64 v[10:11], v[214:215], v[10:11]
	v_add_f64 v[14:15], v[212:213], v[14:15]
	;; [unrolled: 1-line block ×5, first 2 shown]
	v_fma_f64 v[178:179], v[101:102], s[28:29], v[178:179]
	v_add_f64 v[18:19], v[24:25], v[18:19]
	v_add_f64 v[8:9], v[28:29], v[8:9]
	ds_write2_b64 v169, v[6:7], v[10:11] offset0:52 offset1:78
	ds_write2_b64 v169, v[14:15], v[32:33] offset0:104 offset1:130
	;; [unrolled: 1-line block ×4, first 2 shown]
	v_add_f64 v[6:7], v[2:3], v[110:111]
	v_add_f64 v[12:13], v[178:179], v[12:13]
	v_fma_f64 v[176:177], v[172:173], s[14:15], v[184:185]
	v_fma_f64 v[100:101], v[101:102], s[10:11], v[170:171]
	;; [unrolled: 1-line block ×3, first 2 shown]
	v_add_f64 v[34:35], v[34:35], v[36:37]
	v_fma_f64 v[36:37], v[20:21], s[6:7], v[186:187]
	v_add_f64 v[22:23], v[108:109], -v[144:145]
	v_add_f64 v[6:7], v[6:7], v[94:95]
	v_add_f64 v[16:17], v[92:93], -v[66:67]
	v_add_f64 v[12:13], v[176:177], v[12:13]
	v_add_f64 v[0:1], v[100:101], v[0:1]
	v_add_u32_e32 v170, 0x800, v169
	v_add_f64 v[32:33], v[88:89], -v[62:63]
	v_add_f64 v[34:35], v[36:37], v[34:35]
	v_fma_f64 v[36:37], v[38:39], s[4:5], v[202:203]
	v_add_f64 v[6:7], v[6:7], v[90:91]
	v_mul_f64 v[28:29], v[22:23], s[30:31]
	v_add_f64 v[12:13], v[98:99], v[12:13]
	v_fma_f64 v[98:99], v[20:21], s[10:11], v[188:189]
	v_add_f64 v[0:1], v[40:41], v[0:1]
	v_fma_f64 v[40:41], v[38:39], s[22:23], v[204:205]
	v_fma_f64 v[20:21], v[20:21], s[22:23], v[42:43]
	v_add_f64 v[24:25], v[36:37], v[34:35]
	v_add_f64 v[6:7], v[6:7], v[86:87]
	v_mul_f64 v[8:9], v[22:23], s[18:19]
	v_mul_f64 v[14:15], v[22:23], s[16:17]
	v_add_f64 v[12:13], v[98:99], v[12:13]
	v_add_f64 v[0:1], v[26:27], v[0:1]
	;; [unrolled: 1-line block ×3, first 2 shown]
	v_mul_f64 v[18:19], v[22:23], s[20:21]
	v_mul_f64 v[30:31], v[16:17], s[18:19]
	v_add_f64 v[6:7], v[6:7], v[82:83]
	v_mul_f64 v[176:177], v[16:17], s[16:17]
	v_add_f64 v[44:45], v[84:85], -v[58:59]
	v_add_f64 v[12:13], v[40:41], v[12:13]
	v_add_f64 v[0:1], v[20:21], v[0:1]
	v_fma_f64 v[20:21], v[38:39], s[28:29], v[46:47]
	v_fma_f64 v[4:5], v[26:27], s[4:5], -v[28:29]
	v_fma_f64 v[10:11], v[26:27], s[4:5], v[28:29]
	v_add_f64 v[6:7], v[6:7], v[76:77]
	v_add_f64 v[28:29], v[94:95], v[64:65]
	v_fma_f64 v[34:35], v[26:27], s[14:15], -v[14:15]
	ds_write2_b64 v170, v[12:13], v[24:25] offset0:4 offset1:30
	v_mul_f64 v[12:13], v[22:23], s[26:27]
	v_add_f64 v[0:1], v[20:21], v[0:1]
	v_mul_f64 v[20:21], v[22:23], s[24:25]
	v_fma_f64 v[22:23], v[26:27], s[10:11], -v[8:9]
	v_add_f64 v[6:7], v[6:7], v[78:79]
	v_fma_f64 v[8:9], v[26:27], s[10:11], v[8:9]
	v_fma_f64 v[14:15], v[26:27], s[14:15], v[14:15]
	v_fma_f64 v[36:37], v[26:27], s[22:23], -v[18:19]
	v_fma_f64 v[24:25], v[26:27], s[6:7], -v[12:13]
	v_fma_f64 v[12:13], v[26:27], s[6:7], v[12:13]
	v_add_f64 v[4:5], v[2:3], v[4:5]
	v_fma_f64 v[38:39], v[28:29], s[10:11], -v[30:31]
	v_add_f64 v[40:41], v[90:91], v[60:61]
	v_fma_f64 v[18:19], v[26:27], s[22:23], v[18:19]
	v_fma_f64 v[46:47], v[26:27], s[28:29], -v[20:21]
	v_fma_f64 v[20:21], v[26:27], s[28:29], v[20:21]
	v_add_f64 v[22:23], v[2:3], v[22:23]
	v_add_f64 v[6:7], v[6:7], v[54:55]
	v_fma_f64 v[182:183], v[28:29], s[14:15], -v[176:177]
	v_mul_f64 v[184:185], v[16:17], s[24:25]
	v_mul_f64 v[186:187], v[32:33], s[24:25]
	;; [unrolled: 1-line block ×3, first 2 shown]
	v_add_f64 v[10:11], v[2:3], v[10:11]
	v_add_f64 v[4:5], v[38:39], v[4:5]
	;; [unrolled: 1-line block ×3, first 2 shown]
	v_add_f64 v[100:101], v[80:81], -v[52:53]
	v_add_f64 v[8:9], v[2:3], v[8:9]
	v_add_f64 v[24:25], v[2:3], v[24:25]
	;; [unrolled: 1-line block ×11, first 2 shown]
	v_fma_f64 v[22:23], v[28:29], s[28:29], -v[184:185]
	v_fma_f64 v[182:183], v[40:41], s[28:29], -v[186:187]
	v_mul_f64 v[190:191], v[44:45], s[38:39]
	v_fma_f64 v[26:27], v[40:41], s[6:7], -v[42:43]
	v_mul_f64 v[98:99], v[44:45], s[16:17]
	v_add_f64 v[102:103], v[82:83], v[54:55]
	ds_write_b64 v169, v[0:1] offset:2496
	v_add_f64 v[0:1], v[6:7], v[60:61]
	v_add_f64 v[6:7], v[22:23], v[24:25]
	;; [unrolled: 1-line block ×3, first 2 shown]
	v_fma_f64 v[24:25], v[38:39], s[22:23], -v[190:191]
	v_mul_f64 v[182:183], v[100:101], s[34:35]
	v_add_f64 v[4:5], v[26:27], v[4:5]
	v_fma_f64 v[26:27], v[38:39], s[14:15], -v[98:99]
	v_mul_f64 v[172:173], v[100:101], s[20:21]
	v_add_f64 v[174:175], v[72:73], -v[74:75]
	v_mul_f64 v[194:195], v[16:17], s[34:35]
	v_mov_b32_e32 v171, 3
	v_add_f64 v[20:21], v[24:25], v[20:21]
	v_fma_f64 v[192:193], v[102:103], s[6:7], -v[182:183]
	v_lshlrev_b32_sdwa v171, v171, v97 dst_sel:DWORD dst_unused:UNUSED_PAD src0_sel:DWORD src1_sel:BYTE_0
	v_mul_u32_u24_e32 v200, 0xa90, v96
	v_add_f64 v[4:5], v[26:27], v[4:5]
	v_fma_f64 v[26:27], v[102:103], s[22:23], -v[172:173]
	v_add_f64 v[178:179], v[76:77], v[78:79]
	v_mul_f64 v[180:181], v[174:175], s[24:25]
	v_mul_f64 v[96:97], v[16:17], s[38:39]
	v_add3_u32 v171, 0, v200, v171
	v_add_f64 v[20:21], v[192:193], v[20:21]
	v_fma_f64 v[192:193], v[28:29], s[6:7], -v[194:195]
	v_mul_f64 v[200:201], v[32:33], s[18:19]
	v_mul_f64 v[16:17], v[16:17], s[36:37]
	v_add_f64 v[4:5], v[26:27], v[4:5]
	v_fma_f64 v[26:27], v[178:179], s[28:29], -v[180:181]
	v_mul_f64 v[188:189], v[32:33], s[40:41]
	v_mul_f64 v[198:199], v[32:33], s[36:37]
	;; [unrolled: 1-line block ×3, first 2 shown]
	v_add_f64 v[36:37], v[192:193], v[36:37]
	v_fma_f64 v[192:193], v[40:41], s[10:11], -v[200:201]
	v_fma_f64 v[214:215], v[28:29], s[4:5], -v[16:17]
	v_mul_f64 v[32:33], v[32:33], s[20:21]
	v_fma_f64 v[16:17], v[28:29], s[4:5], v[16:17]
	v_add_f64 v[4:5], v[26:27], v[4:5]
	v_mul_f64 v[26:27], v[44:45], s[36:37]
	v_mul_f64 v[202:203], v[44:45], s[26:27]
	;; [unrolled: 1-line block ×3, first 2 shown]
	v_add_f64 v[36:37], v[192:193], v[36:37]
	v_fma_f64 v[192:193], v[38:39], s[28:29], -v[208:209]
	v_mul_f64 v[44:45], v[44:45], s[42:43]
	v_add_f64 v[2:3], v[16:17], v[2:3]
	v_fma_f64 v[16:17], v[40:41], s[22:23], v[32:33]
	v_mul_f64 v[24:25], v[100:101], s[18:19]
	v_mul_f64 v[210:211], v[100:101], s[44:45]
	v_add_f64 v[46:47], v[214:215], v[46:47]
	v_fma_f64 v[214:215], v[40:41], s[22:23], -v[32:33]
	v_add_f64 v[32:33], v[192:193], v[36:37]
	v_fma_f64 v[36:37], v[102:103], s[4:5], -v[216:217]
	v_mul_f64 v[100:101], v[100:101], s[16:17]
	v_add_f64 v[2:3], v[16:17], v[2:3]
	v_fma_f64 v[16:17], v[38:39], s[10:11], v[44:45]
	v_fma_f64 v[22:23], v[40:41], s[14:15], -v[188:189]
	v_fma_f64 v[196:197], v[28:29], s[22:23], -v[96:97]
	v_fma_f64 v[30:31], v[28:29], s[10:11], v[30:31]
	v_fma_f64 v[176:177], v[28:29], s[14:15], v[176:177]
	v_add_f64 v[32:33], v[36:37], v[32:33]
	v_fma_f64 v[36:37], v[28:29], s[22:23], v[96:97]
	v_fma_f64 v[96:97], v[28:29], s[6:7], v[194:195]
	v_add_f64 v[2:3], v[16:17], v[2:3]
	;; [unrolled: 3-line block ×3, first 2 shown]
	v_fma_f64 v[22:23], v[38:39], s[4:5], -v[26:27]
	v_add_f64 v[34:35], v[196:197], v[34:35]
	v_fma_f64 v[196:197], v[40:41], s[4:5], -v[198:199]
	v_add_f64 v[14:15], v[36:37], v[14:15]
	v_fma_f64 v[36:37], v[40:41], s[10:11], v[200:201]
	v_add_f64 v[2:3], v[16:17], v[2:3]
	v_add_f64 v[16:17], v[96:97], v[18:19]
	v_fma_f64 v[18:19], v[40:41], s[4:5], v[198:199]
	v_add_f64 v[10:11], v[30:31], v[10:11]
	v_add_f64 v[8:9], v[176:177], v[8:9]
	v_add_f64 v[12:13], v[28:29], v[12:13]
	v_fma_f64 v[28:29], v[40:41], s[6:7], v[42:43]
	v_fma_f64 v[30:31], v[40:41], s[28:29], v[186:187]
	;; [unrolled: 1-line block ×3, first 2 shown]
	v_add_f64 v[6:7], v[22:23], v[6:7]
	v_fma_f64 v[22:23], v[102:103], s[10:11], -v[24:25]
	v_fma_f64 v[26:27], v[38:39], s[4:5], v[26:27]
	v_add_f64 v[34:35], v[196:197], v[34:35]
	v_fma_f64 v[196:197], v[38:39], s[6:7], -v[202:203]
	v_add_f64 v[10:11], v[28:29], v[10:11]
	v_add_f64 v[8:9], v[30:31], v[8:9]
	;; [unrolled: 1-line block ×3, first 2 shown]
	v_fma_f64 v[28:29], v[38:39], s[14:15], v[98:99]
	v_fma_f64 v[30:31], v[38:39], s[22:23], v[190:191]
	v_add_f64 v[46:47], v[214:215], v[46:47]
	v_fma_f64 v[192:193], v[38:39], s[10:11], -v[44:45]
	v_add_f64 v[14:15], v[18:19], v[14:15]
	v_add_f64 v[16:17], v[36:37], v[16:17]
	v_fma_f64 v[18:19], v[38:39], s[6:7], v[202:203]
	v_fma_f64 v[36:37], v[38:39], s[28:29], v[208:209]
	v_mul_f64 v[204:205], v[174:175], s[36:37]
	v_add_f64 v[6:7], v[22:23], v[6:7]
	v_mul_f64 v[22:23], v[174:175], s[20:21]
	v_add_f64 v[10:11], v[28:29], v[10:11]
	v_add_f64 v[8:9], v[30:31], v[8:9]
	;; [unrolled: 1-line block ×3, first 2 shown]
	v_fma_f64 v[28:29], v[102:103], s[6:7], v[182:183]
	v_fma_f64 v[24:25], v[102:103], s[10:11], v[24:25]
	;; [unrolled: 1-line block ×3, first 2 shown]
	v_add_f64 v[34:35], v[196:197], v[34:35]
	v_fma_f64 v[196:197], v[102:103], s[28:29], -v[210:211]
	v_mul_f64 v[218:219], v[174:175], s[42:43]
	v_mul_f64 v[44:45], v[174:175], s[16:17]
	v_add_f64 v[46:47], v[192:193], v[46:47]
	v_fma_f64 v[192:193], v[102:103], s[14:15], -v[100:101]
	v_mul_f64 v[42:43], v[174:175], s[34:35]
	v_add_f64 v[14:15], v[18:19], v[14:15]
	v_add_f64 v[16:17], v[36:37], v[16:17]
	v_fma_f64 v[18:19], v[102:103], s[28:29], v[210:211]
	v_fma_f64 v[36:37], v[102:103], s[4:5], v[216:217]
	v_add_f64 v[0:1], v[0:1], v[64:65]
	v_fma_f64 v[212:213], v[178:179], s[22:23], -v[22:23]
	v_add_f64 v[8:9], v[28:29], v[8:9]
	v_add_f64 v[12:13], v[24:25], v[12:13]
	v_fma_f64 v[24:25], v[178:179], s[4:5], v[204:205]
	v_fma_f64 v[22:23], v[178:179], s[22:23], v[22:23]
	v_fma_f64 v[206:207], v[178:179], s[4:5], -v[204:205]
	v_add_f64 v[10:11], v[26:27], v[10:11]
	v_fma_f64 v[26:27], v[178:179], s[28:29], v[180:181]
	v_add_f64 v[34:35], v[196:197], v[34:35]
	v_fma_f64 v[196:197], v[178:179], s[10:11], -v[218:219]
	v_fma_f64 v[100:101], v[178:179], s[14:15], -v[44:45]
	v_add_f64 v[46:47], v[192:193], v[46:47]
	v_fma_f64 v[38:39], v[178:179], s[6:7], -v[42:43]
	v_fma_f64 v[30:31], v[178:179], s[6:7], v[42:43]
	v_add_f64 v[14:15], v[18:19], v[14:15]
	v_add_f64 v[16:17], v[36:37], v[16:17]
	v_fma_f64 v[18:19], v[178:179], s[10:11], v[218:219]
	v_fma_f64 v[36:37], v[178:179], s[14:15], v[44:45]
	v_add_f64 v[0:1], v[0:1], v[68:69]
	v_add_f64 v[96:97], v[24:25], v[8:9]
	;; [unrolled: 1-line block ×12, first 2 shown]
	v_add_u32_e32 v172, 0x800, v171
	ds_write2_b64 v171, v[0:1], v[4:5] offset1:26
	ds_write2_b64 v171, v[20:21], v[6:7] offset0:52 offset1:78
	ds_write2_b64 v171, v[34:35], v[28:29] offset0:104 offset1:130
	ds_write2_b64 v171, v[32:33], v[2:3] offset0:156 offset1:182
	ds_write2_b64 v171, v[16:17], v[14:15] offset0:208 offset1:234
	ds_write2_b64 v172, v[8:9], v[96:97] offset0:4 offset1:30
	ds_write_b64 v171, v[98:99] offset:2496
	s_waitcnt lgkmcnt(0)
	; wave barrier
	s_waitcnt lgkmcnt(0)
	v_add_u32_e32 v173, 0x1c00, v162
	ds_read2_b64 v[0:3], v162 offset1:52
	ds_read2_b64 v[12:15], v164 offset0:82 offset1:134
	ds_read2_b64 v[4:7], v165 offset0:164 offset1:216
	;; [unrolled: 1-line block ×11, first 2 shown]
                                        ; implicit-def: $vgpr100_vgpr101
                                        ; implicit-def: $vgpr102_vgpr103
	s_and_saveexec_b64 s[46:47], s[2:3]
	s_cbranch_execz .LBB0_13
; %bb.12:
	ds_read_b64 v[96:97], v162 offset:2496
	ds_read_b64 v[98:99], v162 offset:5200
	;; [unrolled: 1-line block ×4, first 2 shown]
.LBB0_13:
	s_or_b64 exec, exec, s[46:47]
	v_add_f64 v[174:175], v[48:49], v[142:143]
	v_add_f64 v[140:141], v[140:141], -v[158:159]
	v_add_f64 v[158:159], v[132:133], v[150:151]
	v_add_f64 v[142:143], v[142:143], v[70:71]
	v_add_f64 v[138:139], v[138:139], -v[156:157]
	v_add_f64 v[136:137], v[136:137], -v[154:155]
	v_add_f64 v[156:157], v[134:135], v[152:153]
	v_add_f64 v[130:131], v[130:131], -v[146:147]
	v_add_f64 v[132:133], v[174:175], v[132:133]
	v_mul_f64 v[174:175], v[140:141], s[18:19]
	v_mul_f64 v[154:155], v[140:141], s[30:31]
	;; [unrolled: 1-line block ×7, first 2 shown]
	v_add_f64 v[132:133], v[132:133], v[134:135]
	v_fma_f64 v[200:201], v[142:143], s[10:11], v[174:175]
	v_mul_f64 v[182:183], v[138:139], s[18:19]
	v_mul_f64 v[134:135], v[138:139], s[24:25]
	;; [unrolled: 1-line block ×6, first 2 shown]
	v_add_f64 v[132:133], v[132:133], v[128:129]
	v_fma_f64 v[198:199], v[142:143], s[4:5], v[154:155]
	v_fma_f64 v[154:155], v[142:143], s[4:5], -v[154:155]
	v_fma_f64 v[174:175], v[142:143], s[10:11], -v[174:175]
	v_fma_f64 v[202:203], v[142:143], s[6:7], v[176:177]
	v_fma_f64 v[176:177], v[142:143], s[6:7], -v[176:177]
	v_fma_f64 v[204:205], v[142:143], s[14:15], v[178:179]
	v_fma_f64 v[178:179], v[142:143], s[14:15], -v[178:179]
	v_add_f64 v[132:133], v[132:133], v[120:121]
	v_fma_f64 v[206:207], v[142:143], s[22:23], v[180:181]
	v_fma_f64 v[180:181], v[142:143], s[22:23], -v[180:181]
	v_fma_f64 v[208:209], v[142:143], s[28:29], v[140:141]
	v_fma_f64 v[140:141], v[142:143], s[28:29], -v[140:141]
	v_fma_f64 v[210:211], v[158:159], s[14:15], v[184:185]
	v_add_f64 v[200:201], v[48:49], v[200:201]
	v_mul_f64 v[190:191], v[136:137], s[26:27]
	v_add_f64 v[132:133], v[132:133], v[112:113]
	v_mul_f64 v[194:195], v[136:137], s[40:41]
	v_mul_f64 v[196:197], v[136:137], s[36:37]
	v_fma_f64 v[142:143], v[158:159], s[10:11], v[182:183]
	v_fma_f64 v[182:183], v[158:159], s[10:11], -v[182:183]
	v_fma_f64 v[184:185], v[158:159], s[14:15], -v[184:185]
	v_fma_f64 v[212:213], v[158:159], s[28:29], v[134:135]
	v_fma_f64 v[134:135], v[158:159], s[28:29], -v[134:135]
	v_add_f64 v[132:133], v[132:133], v[116:117]
	v_fma_f64 v[214:215], v[158:159], s[22:23], v[186:187]
	v_fma_f64 v[218:219], v[158:159], s[4:5], v[138:139]
	v_fma_f64 v[138:139], v[158:159], s[4:5], -v[138:139]
	v_fma_f64 v[220:221], v[156:157], s[28:29], v[192:193]
	v_add_f64 v[198:199], v[48:49], v[198:199]
	v_add_f64 v[154:155], v[48:49], v[154:155]
	;; [unrolled: 1-line block ×13, first 2 shown]
	v_fma_f64 v[186:187], v[158:159], s[22:23], -v[186:187]
	v_fma_f64 v[216:217], v[158:159], s[6:7], v[188:189]
	v_fma_f64 v[188:189], v[158:159], s[6:7], -v[188:189]
	v_fma_f64 v[158:159], v[156:157], s[6:7], v[190:191]
	v_fma_f64 v[222:223], v[156:157], s[14:15], v[194:195]
	v_add_f64 v[140:141], v[142:143], v[198:199]
	v_add_f64 v[132:133], v[132:133], v[152:153]
	;; [unrolled: 1-line block ×10, first 2 shown]
	v_fma_f64 v[146:147], v[156:157], s[4:5], v[196:197]
	v_fma_f64 v[190:191], v[156:157], s[6:7], -v[190:191]
	v_add_f64 v[150:151], v[186:187], v[178:179]
	v_add_f64 v[178:179], v[216:217], v[206:207]
	;; [unrolled: 1-line block ×7, first 2 shown]
	v_fma_f64 v[132:133], v[156:157], s[14:15], -v[194:195]
	v_mul_f64 v[152:153], v[136:137], s[18:19]
	v_mul_f64 v[136:137], v[136:137], s[20:21]
	v_fma_f64 v[174:175], v[156:157], s[4:5], -v[196:197]
	v_add_f64 v[128:129], v[128:129], v[148:149]
	v_mul_f64 v[148:149], v[130:131], s[16:17]
	v_add_f64 v[146:147], v[146:147], v[176:177]
	v_fma_f64 v[192:193], v[156:157], s[28:29], -v[192:193]
	v_add_f64 v[132:133], v[132:133], v[134:135]
	v_fma_f64 v[134:135], v[156:157], s[10:11], v[152:153]
	v_fma_f64 v[176:177], v[156:157], s[22:23], v[136:137]
	v_add_f64 v[180:181], v[188:189], v[180:181]
	v_add_f64 v[142:143], v[190:191], v[142:143]
	v_fma_f64 v[152:153], v[156:157], s[10:11], -v[152:153]
	v_add_f64 v[150:151], v[174:175], v[150:151]
	v_mul_f64 v[174:175], v[130:131], s[38:39]
	v_fma_f64 v[136:137], v[156:157], s[22:23], -v[136:137]
	v_add_f64 v[134:135], v[134:135], v[178:179]
	v_fma_f64 v[156:157], v[128:129], s[14:15], v[148:149]
	v_mul_f64 v[178:179], v[130:131], s[36:37]
	v_add_f64 v[176:177], v[176:177], v[182:183]
	v_fma_f64 v[148:149], v[128:129], s[14:15], -v[148:149]
	v_mul_f64 v[182:183], v[130:131], s[26:27]
	v_add_f64 v[152:153], v[152:153], v[180:181]
	v_fma_f64 v[180:181], v[128:129], s[22:23], v[174:175]
	v_add_f64 v[136:137], v[136:137], v[138:139]
	v_fma_f64 v[138:139], v[128:129], s[22:23], -v[174:175]
	v_add_f64 v[140:141], v[156:157], v[140:141]
	v_fma_f64 v[156:157], v[128:129], s[4:5], v[178:179]
	v_fma_f64 v[174:175], v[128:129], s[4:5], -v[178:179]
	v_add_f64 v[142:143], v[148:149], v[142:143]
	v_fma_f64 v[148:149], v[128:129], s[6:7], v[182:183]
	v_mul_f64 v[178:179], v[130:131], s[44:45]
	v_add_f64 v[154:155], v[192:193], v[154:155]
	v_mul_f64 v[130:131], v[130:131], s[42:43]
	v_add_f64 v[124:125], v[124:125], -v[126:127]
	v_fma_f64 v[126:127], v[128:129], s[6:7], -v[182:183]
	v_add_f64 v[132:133], v[174:175], v[132:133]
	v_add_f64 v[174:175], v[50:51], v[108:109]
	;; [unrolled: 1-line block ×3, first 2 shown]
	v_fma_f64 v[148:149], v[128:129], s[28:29], v[178:179]
	v_add_f64 v[138:139], v[138:139], v[154:155]
	v_add_f64 v[154:155], v[156:157], v[158:159]
	v_fma_f64 v[156:157], v[128:129], s[28:29], -v[178:179]
	v_fma_f64 v[158:159], v[128:129], s[10:11], v[130:131]
	v_add_f64 v[120:121], v[120:121], v[122:123]
	v_add_f64 v[126:127], v[126:127], v[150:151]
	v_fma_f64 v[128:129], v[128:129], s[10:11], -v[130:131]
	v_add_f64 v[130:131], v[148:149], v[134:135]
	v_mul_f64 v[134:135], v[124:125], s[34:35]
	v_add_f64 v[150:151], v[174:175], v[92:93]
	v_add_f64 v[70:71], v[180:181], v[70:71]
	v_mul_f64 v[122:123], v[124:125], s[20:21]
	v_add_f64 v[148:149], v[156:157], v[152:153]
	v_mul_f64 v[174:175], v[124:125], s[44:45]
	v_add_f64 v[128:129], v[128:129], v[136:137]
	v_add_f64 v[152:153], v[158:159], v[176:177]
	v_fma_f64 v[136:137], v[120:121], s[6:7], v[134:135]
	v_add_f64 v[150:151], v[150:151], v[88:89]
	v_fma_f64 v[134:135], v[120:121], s[6:7], -v[134:135]
	v_fma_f64 v[156:157], v[120:121], s[22:23], v[122:123]
	v_fma_f64 v[122:123], v[120:121], s[22:23], -v[122:123]
	v_mul_f64 v[158:159], v[124:125], s[18:19]
	v_add_f64 v[114:115], v[114:115], -v[118:119]
	v_mul_f64 v[118:119], v[124:125], s[16:17]
	v_add_f64 v[70:71], v[136:137], v[70:71]
	v_add_f64 v[136:137], v[150:151], v[84:85]
	;; [unrolled: 1-line block ×3, first 2 shown]
	v_fma_f64 v[138:139], v[120:121], s[28:29], v[174:175]
	v_add_f64 v[122:123], v[122:123], v[142:143]
	v_mul_f64 v[142:143], v[124:125], s[36:37]
	v_fma_f64 v[124:125], v[120:121], s[28:29], -v[174:175]
	v_add_f64 v[140:141], v[156:157], v[140:141]
	v_fma_f64 v[156:157], v[120:121], s[10:11], v[158:159]
	v_add_f64 v[136:137], v[136:137], v[80:81]
	v_fma_f64 v[158:159], v[120:121], s[10:11], -v[158:159]
	v_add_f64 v[138:139], v[138:139], v[146:147]
	v_add_f64 v[112:113], v[112:113], v[116:117]
	v_fma_f64 v[146:147], v[120:121], s[4:5], v[142:143]
	v_add_f64 v[124:125], v[124:125], v[126:127]
	v_fma_f64 v[142:143], v[120:121], s[4:5], -v[142:143]
	v_add_f64 v[150:151], v[156:157], v[154:155]
	v_add_f64 v[126:127], v[136:137], v[72:73]
	v_mul_f64 v[116:117], v[114:115], s[24:25]
	v_fma_f64 v[154:155], v[120:121], s[14:15], v[118:119]
	v_fma_f64 v[118:119], v[120:121], s[14:15], -v[118:119]
	v_add_f64 v[120:121], v[146:147], v[130:131]
	v_mul_f64 v[130:131], v[114:115], s[36:37]
	v_add_f64 v[136:137], v[142:143], v[148:149]
	v_mul_f64 v[148:149], v[114:115], s[20:21]
	v_add_f64 v[126:127], v[126:127], v[74:75]
	v_fma_f64 v[142:143], v[112:113], s[28:29], v[116:117]
	v_fma_f64 v[116:117], v[112:113], s[28:29], -v[116:117]
	v_add_f64 v[118:119], v[118:119], v[128:129]
	v_add_f64 v[132:133], v[158:159], v[132:133]
	v_fma_f64 v[128:129], v[112:113], s[4:5], v[130:131]
	v_fma_f64 v[130:131], v[112:113], s[4:5], -v[130:131]
	v_add_f64 v[146:147], v[154:155], v[152:153]
	v_add_f64 v[126:127], v[126:127], v[52:53]
	;; [unrolled: 1-line block ×3, first 2 shown]
	v_mul_f64 v[142:143], v[114:115], s[42:43]
	v_fma_f64 v[152:153], v[112:113], s[22:23], v[148:149]
	v_fma_f64 v[148:149], v[112:113], s[22:23], -v[148:149]
	v_add_f64 v[70:71], v[128:129], v[70:71]
	v_mul_f64 v[128:129], v[114:115], s[16:17]
	v_add_f64 v[116:117], v[116:117], v[122:123]
	v_add_f64 v[126:127], v[126:127], v[58:59]
	;; [unrolled: 1-line block ×3, first 2 shown]
	v_fma_f64 v[130:131], v[112:113], s[10:11], v[142:143]
	v_add_f64 v[68:69], v[110:111], -v[68:69]
	v_fma_f64 v[110:111], v[112:113], s[10:11], -v[142:143]
	v_mul_f64 v[114:115], v[114:115], s[34:35]
	v_fma_f64 v[142:143], v[112:113], s[14:15], v[128:129]
	v_add_f64 v[132:133], v[148:149], v[132:133]
	v_add_f64 v[126:127], v[126:127], v[62:63]
	v_fma_f64 v[128:129], v[112:113], s[14:15], -v[128:129]
	v_add_f64 v[130:131], v[130:131], v[138:139]
	v_add_f64 v[108:109], v[108:109], v[144:145]
	v_mul_f64 v[138:139], v[68:69], s[30:31]
	v_add_f64 v[124:125], v[110:111], v[124:125]
	v_fma_f64 v[110:111], v[112:113], s[6:7], v[114:115]
	v_add_f64 v[120:121], v[142:143], v[120:121]
	v_fma_f64 v[112:113], v[112:113], s[6:7], -v[114:115]
	v_mul_f64 v[114:115], v[68:69], s[18:19]
	v_add_f64 v[126:127], v[126:127], v[66:67]
	v_mul_f64 v[142:143], v[68:69], s[26:27]
	v_mul_f64 v[148:149], v[68:69], s[20:21]
	v_add_f64 v[64:65], v[94:95], -v[64:65]
	v_add_f64 v[134:135], v[152:153], v[150:151]
	v_add_f64 v[128:129], v[128:129], v[136:137]
	v_fma_f64 v[136:137], v[108:109], s[4:5], v[138:139]
	v_add_f64 v[146:147], v[110:111], v[146:147]
	v_fma_f64 v[110:111], v[108:109], s[4:5], -v[138:139]
	v_add_f64 v[112:113], v[112:113], v[118:119]
	v_fma_f64 v[118:119], v[108:109], s[10:11], v[114:115]
	v_add_f64 v[126:127], v[126:127], v[144:145]
	v_fma_f64 v[138:139], v[108:109], s[6:7], v[142:143]
	v_mul_f64 v[144:145], v[68:69], s[16:17]
	v_mul_f64 v[68:69], v[68:69], s[24:25]
	v_fma_f64 v[150:151], v[108:109], s[22:23], v[148:149]
	v_add_f64 v[66:67], v[92:93], v[66:67]
	v_mul_f64 v[92:93], v[64:65], s[18:19]
	v_mul_f64 v[152:153], v[64:65], s[16:17]
	v_fma_f64 v[114:115], v[108:109], s[10:11], -v[114:115]
	v_add_f64 v[136:137], v[50:51], v[136:137]
	v_add_f64 v[110:111], v[50:51], v[110:111]
	v_fma_f64 v[142:143], v[108:109], s[6:7], -v[142:143]
	v_add_f64 v[118:119], v[50:51], v[118:119]
	v_add_f64 v[94:95], v[50:51], v[138:139]
	v_fma_f64 v[138:139], v[108:109], s[14:15], v[144:145]
	v_fma_f64 v[144:145], v[108:109], s[14:15], -v[144:145]
	v_fma_f64 v[148:149], v[108:109], s[22:23], -v[148:149]
	v_fma_f64 v[154:155], v[108:109], s[28:29], v[68:69]
	v_fma_f64 v[68:69], v[108:109], s[28:29], -v[68:69]
	v_add_f64 v[108:109], v[50:51], v[150:151]
	v_fma_f64 v[150:151], v[66:67], s[10:11], v[92:93]
	v_mul_f64 v[156:157], v[64:65], s[24:25]
	v_fma_f64 v[92:93], v[66:67], s[10:11], -v[92:93]
	v_fma_f64 v[158:159], v[66:67], s[14:15], v[152:153]
	v_add_f64 v[114:115], v[50:51], v[114:115]
	v_add_f64 v[142:143], v[50:51], v[142:143]
	v_add_f64 v[138:139], v[50:51], v[138:139]
	v_add_f64 v[144:145], v[50:51], v[144:145]
	v_add_f64 v[148:149], v[50:51], v[148:149]
	v_add_f64 v[154:155], v[50:51], v[154:155]
	v_add_f64 v[50:51], v[50:51], v[68:69]
	v_fma_f64 v[68:69], v[66:67], s[14:15], -v[152:153]
	v_add_f64 v[136:137], v[150:151], v[136:137]
	v_mul_f64 v[150:151], v[64:65], s[38:39]
	v_fma_f64 v[152:153], v[66:67], s[28:29], v[156:157]
	v_add_f64 v[92:93], v[92:93], v[110:111]
	v_add_f64 v[110:111], v[158:159], v[118:119]
	v_fma_f64 v[118:119], v[66:67], s[28:29], -v[156:157]
	v_mul_f64 v[156:157], v[64:65], s[34:35]
	v_add_f64 v[60:61], v[90:91], -v[60:61]
	v_add_f64 v[68:69], v[68:69], v[114:115]
	v_fma_f64 v[90:91], v[66:67], s[22:23], v[150:151]
	v_fma_f64 v[114:115], v[66:67], s[22:23], -v[150:151]
	v_mul_f64 v[64:65], v[64:65], s[36:37]
	v_add_f64 v[62:63], v[88:89], v[62:63]
	v_add_f64 v[118:119], v[118:119], v[142:143]
	v_fma_f64 v[142:143], v[66:67], s[6:7], v[156:157]
	v_mul_f64 v[88:89], v[60:61], s[26:27]
	v_mul_f64 v[150:151], v[60:61], s[24:25]
	v_add_f64 v[90:91], v[90:91], v[138:139]
	v_fma_f64 v[138:139], v[66:67], s[6:7], -v[156:157]
	v_add_f64 v[114:115], v[114:115], v[144:145]
	v_fma_f64 v[144:145], v[66:67], s[4:5], v[64:65]
	v_fma_f64 v[64:65], v[66:67], s[4:5], -v[64:65]
	v_add_f64 v[66:67], v[142:143], v[108:109]
	v_fma_f64 v[108:109], v[62:63], s[6:7], v[88:89]
	v_mul_f64 v[142:143], v[60:61], s[40:41]
	v_add_f64 v[94:95], v[152:153], v[94:95]
	v_add_f64 v[138:139], v[138:139], v[148:149]
	v_fma_f64 v[88:89], v[62:63], s[6:7], -v[88:89]
	v_fma_f64 v[148:149], v[62:63], s[28:29], v[150:151]
	v_add_f64 v[50:51], v[64:65], v[50:51]
	v_fma_f64 v[64:65], v[62:63], s[28:29], -v[150:151]
	v_add_f64 v[108:109], v[108:109], v[136:137]
	v_fma_f64 v[136:137], v[62:63], s[14:15], v[142:143]
	v_mul_f64 v[150:151], v[60:61], s[36:37]
	v_add_f64 v[56:57], v[86:87], -v[56:57]
	v_add_f64 v[88:89], v[88:89], v[92:93]
	v_fma_f64 v[92:93], v[62:63], s[14:15], -v[142:143]
	v_mul_f64 v[142:143], v[60:61], s[18:19]
	v_add_f64 v[64:65], v[64:65], v[68:69]
	v_mul_f64 v[60:61], v[60:61], s[20:21]
	v_add_f64 v[68:69], v[136:137], v[94:95]
	v_fma_f64 v[86:87], v[62:63], s[4:5], v[150:151]
	v_fma_f64 v[94:95], v[62:63], s[4:5], -v[150:151]
	v_add_f64 v[58:59], v[84:85], v[58:59]
	v_add_f64 v[92:93], v[92:93], v[118:119]
	v_fma_f64 v[118:119], v[62:63], s[10:11], v[142:143]
	v_mul_f64 v[84:85], v[56:57], s[16:17]
	v_fma_f64 v[136:137], v[62:63], s[10:11], -v[142:143]
	v_add_f64 v[110:111], v[148:149], v[110:111]
	v_add_f64 v[86:87], v[86:87], v[90:91]
	;; [unrolled: 1-line block ×3, first 2 shown]
	v_mul_f64 v[94:95], v[56:57], s[38:39]
	v_fma_f64 v[114:115], v[62:63], s[22:23], v[60:61]
	v_fma_f64 v[60:61], v[62:63], s[22:23], -v[60:61]
	v_add_f64 v[62:63], v[118:119], v[66:67]
	v_fma_f64 v[66:67], v[58:59], s[14:15], v[84:85]
	v_add_f64 v[118:119], v[136:137], v[138:139]
	v_mul_f64 v[136:137], v[56:57], s[36:37]
	v_fma_f64 v[84:85], v[58:59], s[14:15], -v[84:85]
	v_fma_f64 v[138:139], v[58:59], s[22:23], v[94:95]
	v_add_f64 v[54:55], v[82:83], -v[54:55]
	v_add_f64 v[50:51], v[60:61], v[50:51]
	v_fma_f64 v[60:61], v[58:59], s[22:23], -v[94:95]
	v_mul_f64 v[94:95], v[56:57], s[26:27]
	v_add_f64 v[66:67], v[66:67], v[108:109]
	v_fma_f64 v[108:109], v[58:59], s[4:5], v[136:137]
	v_add_f64 v[84:85], v[84:85], v[88:89]
	v_add_f64 v[88:89], v[138:139], v[110:111]
	v_fma_f64 v[110:111], v[58:59], s[4:5], -v[136:137]
	v_mul_f64 v[136:137], v[56:57], s[44:45]
	v_mul_f64 v[56:57], v[56:57], s[42:43]
	v_fma_f64 v[82:83], v[58:59], s[6:7], -v[94:95]
	v_add_f64 v[60:61], v[60:61], v[64:65]
	v_fma_f64 v[64:65], v[58:59], s[6:7], v[94:95]
	v_add_f64 v[68:69], v[108:109], v[68:69]
	v_add_f64 v[52:53], v[80:81], v[52:53]
	v_mul_f64 v[80:81], v[54:55], s[20:21]
	v_fma_f64 v[94:95], v[58:59], s[28:29], v[136:137]
	v_mul_f64 v[108:109], v[54:55], s[34:35]
	v_add_f64 v[82:83], v[82:83], v[90:91]
	v_fma_f64 v[90:91], v[58:59], s[10:11], v[56:57]
	v_fma_f64 v[56:57], v[58:59], s[10:11], -v[56:57]
	v_add_f64 v[64:65], v[64:65], v[86:87]
	v_fma_f64 v[86:87], v[58:59], s[28:29], -v[136:137]
	v_add_f64 v[92:93], v[110:111], v[92:93]
	v_add_f64 v[58:59], v[94:95], v[62:63]
	v_fma_f64 v[62:63], v[52:53], s[22:23], v[80:81]
	v_mul_f64 v[94:95], v[54:55], s[18:19]
	v_fma_f64 v[80:81], v[52:53], s[22:23], -v[80:81]
	v_add_f64 v[50:51], v[56:57], v[50:51]
	v_fma_f64 v[56:57], v[52:53], s[6:7], -v[108:109]
	v_fma_f64 v[110:111], v[52:53], s[6:7], v[108:109]
	v_mul_f64 v[108:109], v[54:55], s[44:45]
	v_add_f64 v[144:145], v[144:145], v[154:155]
	v_add_f64 v[62:63], v[62:63], v[66:67]
	v_fma_f64 v[66:67], v[52:53], s[10:11], v[94:95]
	v_add_f64 v[80:81], v[80:81], v[84:85]
	v_fma_f64 v[84:85], v[52:53], s[10:11], -v[94:95]
	v_add_f64 v[56:57], v[56:57], v[60:61]
	v_add_f64 v[60:61], v[76:77], -v[78:79]
	v_mul_f64 v[94:95], v[54:55], s[36:37]
	v_mul_f64 v[54:55], v[54:55], s[16:17]
	v_fma_f64 v[78:79], v[52:53], s[28:29], -v[108:109]
	v_add_f64 v[66:67], v[66:67], v[68:69]
	v_fma_f64 v[68:69], v[52:53], s[28:29], v[108:109]
	v_add_f64 v[72:73], v[72:73], v[74:75]
	v_add_f64 v[114:115], v[114:115], v[144:145]
	v_mul_f64 v[74:75], v[60:61], s[24:25]
	v_add_f64 v[86:87], v[86:87], v[118:119]
	v_add_f64 v[76:77], v[84:85], v[92:93]
	v_fma_f64 v[84:85], v[52:53], s[4:5], v[94:95]
	v_fma_f64 v[92:93], v[52:53], s[4:5], -v[94:95]
	v_add_f64 v[64:65], v[68:69], v[64:65]
	v_fma_f64 v[68:69], v[52:53], s[14:15], v[54:55]
	v_mul_f64 v[94:95], v[60:61], s[36:37]
	v_fma_f64 v[52:53], v[52:53], s[14:15], -v[54:55]
	v_add_f64 v[54:55], v[78:79], v[82:83]
	v_fma_f64 v[78:79], v[72:73], s[28:29], v[74:75]
	v_fma_f64 v[74:75], v[72:73], s[28:29], -v[74:75]
	v_add_f64 v[90:91], v[90:91], v[114:115]
	v_add_f64 v[88:89], v[110:111], v[88:89]
	;; [unrolled: 1-line block ×4, first 2 shown]
	v_fma_f64 v[84:85], v[72:73], s[4:5], v[94:95]
	v_add_f64 v[50:51], v[52:53], v[50:51]
	v_fma_f64 v[52:53], v[72:73], s[4:5], -v[94:95]
	v_mul_f64 v[86:87], v[60:61], s[20:21]
	v_add_f64 v[62:63], v[78:79], v[62:63]
	v_mul_f64 v[78:79], v[60:61], s[42:43]
	v_add_f64 v[108:109], v[74:75], v[80:81]
	v_mul_f64 v[74:75], v[60:61], s[16:17]
	v_mul_f64 v[60:61], v[60:61], s[34:35]
	v_add_f64 v[68:69], v[68:69], v[90:91]
	v_add_f64 v[80:81], v[84:85], v[88:89]
	;; [unrolled: 1-line block ×3, first 2 shown]
	v_fma_f64 v[52:53], v[72:73], s[22:23], v[86:87]
	v_fma_f64 v[56:57], v[72:73], s[22:23], -v[86:87]
	v_fma_f64 v[84:85], v[72:73], s[10:11], v[78:79]
	v_fma_f64 v[78:79], v[72:73], s[10:11], -v[78:79]
	;; [unrolled: 2-line block ×4, first 2 shown]
	v_add_f64 v[52:53], v[52:53], v[66:67]
	v_add_f64 v[56:57], v[56:57], v[76:77]
	;; [unrolled: 1-line block ×8, first 2 shown]
	s_waitcnt lgkmcnt(0)
	; wave barrier
	s_waitcnt lgkmcnt(0)
	ds_write2_b64 v169, v[48:49], v[140:141] offset1:26
	ds_write2_b64 v169, v[70:71], v[134:135] offset0:52 offset1:78
	ds_write2_b64 v169, v[130:131], v[120:121] offset0:104 offset1:130
	;; [unrolled: 1-line block ×5, first 2 shown]
	ds_write_b64 v169, v[116:117] offset:2496
	ds_write2_b64 v171, v[126:127], v[62:63] offset1:26
	ds_write2_b64 v171, v[80:81], v[52:53] offset0:52 offset1:78
	ds_write2_b64 v171, v[64:65], v[58:59] offset0:104 offset1:130
	;; [unrolled: 1-line block ×5, first 2 shown]
	ds_write_b64 v171, v[108:109] offset:2496
	s_waitcnt lgkmcnt(0)
	; wave barrier
	s_waitcnt lgkmcnt(0)
	ds_read2_b64 v[48:51], v162 offset1:52
	ds_read2_b64 v[52:55], v164 offset0:82 offset1:134
	ds_read2_b64 v[60:63], v165 offset0:164 offset1:216
	ds_read2_b64 v[56:59], v173 offset0:118 offset1:170
	ds_read2_b64 v[64:67], v162 offset0:104 offset1:156
	ds_read2_b64 v[68:71], v164 offset0:186 offset1:238
	ds_read2_b64 v[76:79], v166 offset0:12 offset1:64
	ds_read2_b64 v[72:75], v167 offset0:94 offset1:146
	ds_read2_b64 v[80:83], v163 offset0:80 offset1:132
	ds_read2_b64 v[88:91], v165 offset0:34 offset1:86
	ds_read2_b64 v[92:95], v166 offset0:116 offset1:168
	ds_read2_b64 v[84:87], v167 offset0:198 offset1:250
                                        ; implicit-def: $vgpr112_vgpr113
                                        ; implicit-def: $vgpr114_vgpr115
	s_and_saveexec_b64 s[4:5], s[2:3]
	s_cbranch_execz .LBB0_15
; %bb.14:
	ds_read_b64 v[110:111], v162 offset:2496
	ds_read_b64 v[108:109], v162 offset:5200
	;; [unrolled: 1-line block ×4, first 2 shown]
	v_mov_b32_e32 v168, v105
.LBB0_15:
	s_or_b64 exec, exec, s[4:5]
	s_and_saveexec_b64 s[4:5], s[0:1]
	s_cbranch_execz .LBB0_18
; %bb.16:
	v_mul_u32_u24_e32 v105, 3, v160
	v_lshlrev_b32_e32 v105, 4, v105
	v_mov_b32_e32 v183, s9
	v_add_co_u32_e32 v105, vcc, s8, v105
	v_addc_co_u32_e32 v116, vcc, 0, v183, vcc
	v_add_co_u32_e32 v126, vcc, 0x1500, v105
	v_addc_co_u32_e32 v127, vcc, 0, v116, vcc
	;; [unrolled: 2-line block ×3, first 2 shown]
	global_load_dwordx4 v[118:121], v[118:119], off offset:1280
	s_nop 0
	global_load_dwordx4 v[122:125], v[126:127], off offset:32
	s_nop 0
	global_load_dwordx4 v[126:129], v[126:127], off offset:16
	v_mov_b32_e32 v105, 0xffffff64
	v_mov_b32_e32 v117, 0
	v_mad_u32_u24 v116, v160, 3, v105
	v_lshlrev_b64 v[130:131], 4, v[116:117]
	s_movk_i32 s1, 0x1500
	v_add_co_u32_e32 v105, vcc, s8, v130
	v_addc_co_u32_e32 v116, vcc, v183, v131, vcc
	v_add_co_u32_e32 v138, vcc, s1, v105
	s_movk_i32 s0, 0x1000
	v_addc_co_u32_e32 v139, vcc, 0, v116, vcc
	v_add_co_u32_e32 v134, vcc, s0, v105
	v_addc_co_u32_e32 v135, vcc, 0, v116, vcc
	global_load_dwordx4 v[130:133], v[138:139], off offset:16
	s_nop 0
	global_load_dwordx4 v[134:137], v[134:135], off offset:1280
	s_nop 0
	global_load_dwordx4 v[138:141], v[138:139], off offset:32
	v_mov_b32_e32 v105, 0xfffffec8
	v_mad_u32_u24 v116, v160, 3, v105
	v_lshlrev_b64 v[142:143], 4, v[116:117]
	v_mov_b32_e32 v144, 0xfffffe2c
	v_add_co_u32_e32 v105, vcc, s8, v142
	v_mov_b32_e32 v146, 0xfffffd90
	v_mad_u32_u24 v116, v160, 3, v144
	v_addc_co_u32_e32 v142, vcc, v183, v143, vcc
	v_lshlrev_b64 v[144:145], 4, v[116:117]
	v_mad_u32_u24 v116, v160, 3, v146
	v_add_co_u32_e32 v146, vcc, s1, v105
	v_addc_co_u32_e32 v147, vcc, 0, v142, vcc
	v_add_co_u32_e32 v162, vcc, s0, v105
	v_addc_co_u32_e32 v163, vcc, 0, v142, vcc
	v_add_co_u32_e32 v105, vcc, s8, v144
	v_lshlrev_b64 v[158:159], 4, v[116:117]
	v_addc_co_u32_e32 v116, vcc, v183, v145, vcc
	global_load_dwordx4 v[142:145], v[146:147], off offset:32
	s_nop 0
	global_load_dwordx4 v[146:149], v[146:147], off offset:16
	v_add_co_u32_e32 v166, vcc, s1, v105
	v_addc_co_u32_e32 v167, vcc, 0, v116, vcc
	v_add_co_u32_e32 v150, vcc, s0, v105
	v_addc_co_u32_e32 v151, vcc, 0, v116, vcc
	global_load_dwordx4 v[150:153], v[150:151], off offset:1280
	s_nop 0
	global_load_dwordx4 v[154:157], v[166:167], off offset:32
	s_nop 0
	global_load_dwordx4 v[162:165], v[162:163], off offset:1280
	s_nop 0
	global_load_dwordx4 v[169:172], v[166:167], off offset:16
	v_mov_b32_e32 v105, v117
	s_movk_i32 s4, 0x3000
	s_movk_i32 s5, 0x4000
	v_or_b32_e32 v116, 0x340, v104
	s_mov_b32 s6, 0x60f25deb
	s_movk_i32 s7, 0x3f6
	s_waitcnt vmcnt(11)
	v_mul_f64 v[175:176], v[42:43], v[120:121]
	s_waitcnt vmcnt(10) lgkmcnt(0)
	v_mul_f64 v[173:174], v[86:87], v[124:125]
	s_waitcnt vmcnt(9)
	v_mul_f64 v[166:167], v[94:95], v[126:127]
	v_mul_f64 v[124:125], v[46:47], v[124:125]
	v_mul_f64 v[94:95], v[94:95], v[128:129]
	v_mul_f64 v[120:121], v[90:91], v[120:121]
	v_fma_f64 v[90:91], v[90:91], v[118:119], v[175:176]
	v_fma_f64 v[46:47], v[46:47], v[122:123], -v[173:174]
	v_fma_f64 v[128:129], v[38:39], v[128:129], v[166:167]
	v_fma_f64 v[86:87], v[86:87], v[122:123], v[124:125]
	v_fma_f64 v[38:39], v[38:39], v[126:127], -v[94:95]
	v_fma_f64 v[42:43], v[42:43], v[118:119], -v[120:121]
	v_add_f64 v[118:119], v[82:83], -v[128:129]
	s_waitcnt vmcnt(8)
	v_mul_f64 v[177:178], v[92:93], v[130:131]
	s_waitcnt vmcnt(7)
	v_mul_f64 v[179:180], v[88:89], v[136:137]
	;; [unrolled: 2-line block ×3, first 2 shown]
	v_mul_f64 v[92:93], v[92:93], v[132:133]
	v_mul_f64 v[124:125], v[40:41], v[136:137]
	v_add_f64 v[86:87], v[90:91], -v[86:87]
	v_mul_f64 v[136:137], v[44:45], v[140:141]
	v_add_f64 v[38:39], v[34:35], -v[38:39]
	v_fma_f64 v[94:95], v[36:37], v[132:133], v[177:178]
	v_add_f64 v[46:47], v[42:43], -v[46:47]
	v_fma_f64 v[140:141], v[40:41], v[134:135], -v[179:180]
	v_fma_f64 v[40:41], v[44:45], v[138:139], -v[181:182]
	;; [unrolled: 1-line block ×3, first 2 shown]
	v_fma_f64 v[130:131], v[88:89], v[134:135], v[124:125]
	v_fma_f64 v[88:89], v[82:83], 2.0, -v[118:119]
	v_fma_f64 v[82:83], v[90:91], 2.0, -v[86:87]
	v_fma_f64 v[84:85], v[84:85], v[138:139], v[136:137]
	v_add_f64 v[134:135], v[80:81], -v[94:95]
	v_fma_f64 v[138:139], v[34:35], 2.0, -v[38:39]
	v_add_f64 v[34:35], v[38:39], -v[86:87]
	v_fma_f64 v[42:43], v[42:43], 2.0, -v[46:47]
	v_add_f64 v[136:137], v[140:141], -v[40:41]
	v_add_f64 v[36:37], v[118:119], v[46:47]
	v_add_f64 v[40:41], v[88:89], -v[82:83]
	v_add_f64 v[166:167], v[130:131], -v[84:85]
	v_add_co_u32_e32 v84, vcc, s8, v158
	v_addc_co_u32_e32 v85, vcc, v183, v159, vcc
	v_fma_f64 v[173:174], v[80:81], 2.0, -v[134:135]
	v_fma_f64 v[80:81], v[38:39], 2.0, -v[34:35]
	v_add_f64 v[38:39], v[138:139], -v[42:43]
	v_add_co_u32_e32 v42, vcc, s1, v84
	v_addc_co_u32_e32 v43, vcc, 0, v85, vcc
	v_add_co_u32_e32 v84, vcc, s0, v84
	v_addc_co_u32_e32 v85, vcc, 0, v85, vcc
	v_fma_f64 v[82:83], v[118:119], 2.0, -v[36:37]
	v_fma_f64 v[86:87], v[88:89], 2.0, -v[40:41]
	global_load_dwordx4 v[88:91], v[84:85], off offset:1280
	global_load_dwordx4 v[92:95], v[42:43], off offset:32
	;; [unrolled: 1-line block ×3, first 2 shown]
	v_mul_u32_u24_e32 v42, 3, v104
	v_lshlrev_b32_e32 v42, 4, v42
	v_add_co_u32_e32 v84, vcc, s8, v42
	v_addc_co_u32_e32 v85, vcc, 0, v183, vcc
	v_add_co_u32_e32 v42, vcc, s1, v84
	v_addc_co_u32_e32 v43, vcc, 0, v85, vcc
	;; [unrolled: 2-line block ×3, first 2 shown]
	global_load_dwordx4 v[122:125], v[42:43], off offset:16
	global_load_dwordx4 v[126:129], v[84:85], off offset:1280
	v_fma_f64 v[158:159], v[130:131], 2.0, -v[166:167]
	global_load_dwordx4 v[130:133], v[42:43], off offset:32
	s_waitcnt vmcnt(10)
	v_mul_f64 v[177:178], v[78:79], v[146:147]
	v_mul_f64 v[181:182], v[74:75], v[144:145]
	v_add_f64 v[46:47], v[32:33], -v[44:45]
	v_add_f64 v[44:45], v[134:135], v[136:137]
	v_fma_f64 v[140:141], v[140:141], 2.0, -v[136:137]
	v_mul_f64 v[78:79], v[78:79], v[148:149]
	v_add_f64 v[136:137], v[173:174], -v[158:159]
	s_waitcnt vmcnt(7)
	v_mul_f64 v[179:180], v[70:71], v[164:165]
	v_fma_f64 v[158:159], v[22:23], v[148:149], v[177:178]
	v_fma_f64 v[177:178], v[26:27], v[142:143], -v[181:182]
	v_mul_f64 v[148:149], v[30:31], v[164:165]
	v_mul_f64 v[26:27], v[26:27], v[144:145]
	v_add_f64 v[42:43], v[46:47], -v[166:167]
	v_fma_f64 v[22:23], v[22:23], v[146:147], -v[78:79]
	v_mul_f64 v[78:79], v[68:69], v[152:153]
	v_fma_f64 v[166:167], v[30:31], v[162:163], -v[179:180]
	v_mul_f64 v[146:147], v[24:25], v[156:157]
	v_fma_f64 v[175:176], v[32:33], 2.0, -v[46:47]
	v_fma_f64 v[70:71], v[70:71], v[162:163], v[148:149]
	v_fma_f64 v[26:27], v[74:75], v[142:143], v[26:27]
	s_waitcnt vmcnt(6)
	v_mul_f64 v[74:75], v[76:77], v[169:170]
	v_mul_f64 v[76:77], v[76:77], v[171:172]
	;; [unrolled: 1-line block ×4, first 2 shown]
	v_add_f64 v[152:153], v[18:19], -v[22:23]
	v_fma_f64 v[28:29], v[28:29], v[150:151], -v[78:79]
	v_fma_f64 v[30:31], v[46:47], 2.0, -v[42:43]
	v_add_f64 v[22:23], v[70:71], -v[26:27]
	v_fma_f64 v[26:27], v[20:21], v[171:172], v[74:75]
	v_fma_f64 v[20:21], v[20:21], v[169:170], -v[76:77]
	v_fma_f64 v[24:25], v[24:25], v[154:155], -v[148:149]
	v_add_f64 v[46:47], v[66:67], -v[158:159]
	v_add_f64 v[144:145], v[166:167], -v[177:178]
	v_fma_f64 v[68:69], v[68:69], v[150:151], v[142:143]
	v_fma_f64 v[72:73], v[72:73], v[154:155], v[146:147]
	v_fma_f64 v[70:71], v[70:71], 2.0, -v[22:23]
	v_fma_f64 v[74:75], v[18:19], 2.0, -v[152:153]
	v_add_f64 v[142:143], v[16:17], -v[20:21]
	v_add_f64 v[146:147], v[28:29], -v[24:25]
	v_fma_f64 v[66:67], v[66:67], 2.0, -v[46:47]
	v_fma_f64 v[76:77], v[166:167], 2.0, -v[144:145]
	v_add_f64 v[78:79], v[64:65], -v[26:27]
	v_add_f64 v[72:73], v[68:69], -v[72:73]
	v_add_f64 v[20:21], v[46:47], v[144:145]
	v_add_f64 v[18:19], v[152:153], -v[22:23]
	v_fma_f64 v[16:17], v[16:17], 2.0, -v[142:143]
	v_fma_f64 v[148:149], v[28:29], 2.0, -v[146:147]
	v_add_f64 v[24:25], v[66:67], -v[70:71]
	v_add_f64 v[22:23], v[74:75], -v[76:77]
	v_fma_f64 v[144:145], v[64:65], 2.0, -v[78:79]
	v_fma_f64 v[76:77], v[68:69], 2.0, -v[72:73]
	;; [unrolled: 1-line block ×3, first 2 shown]
	v_add_f64 v[70:71], v[78:79], v[146:147]
	v_add_f64 v[68:69], v[142:143], -v[72:73]
	v_add_f64 v[72:73], v[16:17], -v[148:149]
	s_movk_i32 s1, 0x2000
	v_fma_f64 v[64:65], v[74:75], 2.0, -v[22:23]
	v_fma_f64 v[66:67], v[66:67], 2.0, -v[24:25]
	v_add_f64 v[74:75], v[144:145], -v[76:77]
	v_fma_f64 v[26:27], v[152:153], 2.0, -v[18:19]
	s_waitcnt vmcnt(5)
	v_mul_f64 v[146:147], v[54:55], v[90:91]
	s_waitcnt vmcnt(4)
	v_mul_f64 v[148:149], v[58:59], v[94:95]
	;; [unrolled: 2-line block ×3, first 2 shown]
	v_mul_f64 v[62:63], v[62:63], v[120:121]
	v_fma_f64 v[76:77], v[142:143], 2.0, -v[68:69]
	v_fma_f64 v[142:143], v[16:17], 2.0, -v[72:73]
	;; [unrolled: 1-line block ×5, first 2 shown]
	v_add_f64 v[134:135], v[175:176], -v[140:141]
	v_fma_f64 v[16:17], v[6:7], v[120:121], v[46:47]
	v_fma_f64 v[46:47], v[14:15], v[88:89], -v[146:147]
	v_fma_f64 v[120:121], v[10:11], v[92:93], -v[148:149]
	;; [unrolled: 1-line block ×3, first 2 shown]
	v_mul_f64 v[14:15], v[14:15], v[90:91]
	v_mul_f64 v[10:11], v[10:11], v[94:95]
	s_waitcnt vmcnt(2)
	v_mul_f64 v[62:63], v[4:5], v[124:125]
	s_waitcnt vmcnt(1)
	v_mul_f64 v[90:91], v[52:53], v[128:129]
	v_mul_f64 v[94:95], v[12:13], v[128:129]
	s_waitcnt vmcnt(0)
	v_mul_f64 v[118:119], v[8:9], v[132:133]
	v_mul_f64 v[124:125], v[60:61], v[124:125]
	;; [unrolled: 1-line block ×3, first 2 shown]
	v_fma_f64 v[14:15], v[54:55], v[88:89], v[14:15]
	v_fma_f64 v[10:11], v[58:59], v[92:93], v[10:11]
	;; [unrolled: 1-line block ×3, first 2 shown]
	v_fma_f64 v[12:13], v[12:13], v[126:127], -v[90:91]
	v_fma_f64 v[52:53], v[52:53], v[126:127], v[94:95]
	v_fma_f64 v[56:57], v[56:57], v[130:131], v[118:119]
	v_fma_f64 v[4:5], v[4:5], v[122:123], -v[124:125]
	v_fma_f64 v[8:9], v[8:9], v[130:131], -v[128:129]
	v_add_f64 v[58:59], v[50:51], -v[16:17]
	v_add_f64 v[10:11], v[14:15], -v[10:11]
	;; [unrolled: 1-line block ×8, first 2 shown]
	v_fma_f64 v[56:57], v[50:51], 2.0, -v[58:59]
	v_fma_f64 v[14:15], v[14:15], 2.0, -v[10:11]
	;; [unrolled: 1-line block ×8, first 2 shown]
	v_add_f64 v[8:9], v[58:59], v[6:7]
	v_add_f64 v[6:7], v[60:61], -v[10:11]
	v_add_f64 v[12:13], v[56:57], -v[14:15]
	;; [unrolled: 1-line block ×5, first 2 shown]
	v_add_f64 v[16:17], v[62:63], v[16:17]
	v_add_f64 v[46:47], v[0:1], -v[50:51]
	v_fma_f64 v[52:53], v[58:59], 2.0, -v[8:9]
	v_fma_f64 v[50:51], v[60:61], 2.0, -v[6:7]
	;; [unrolled: 1-line block ×8, first 2 shown]
	v_mov_b32_e32 v0, s13
	v_add_co_u32_e32 v62, vcc, s12, v106
	v_addc_co_u32_e32 v63, vcc, v0, v107, vcc
	v_lshlrev_b64 v[0:1], 4, v[104:105]
	v_fma_f64 v[84:85], v[138:139], 2.0, -v[38:39]
	v_add_co_u32_e32 v0, vcc, v62, v0
	v_addc_co_u32_e32 v1, vcc, v63, v1, vcc
	global_store_dwordx4 v[0:1], v[2:5], off
	v_fma_f64 v[140:141], v[173:174], 2.0, -v[136:137]
	v_add_co_u32_e32 v2, vcc, s0, v0
	v_addc_co_u32_e32 v3, vcc, 0, v1, vcc
	v_add_co_u32_e32 v4, vcc, s1, v0
	v_addc_co_u32_e32 v5, vcc, 0, v1, vcc
	global_store_dwordx4 v[4:5], v[46:49], off offset:2624
	global_store_dwordx4 v[2:3], v[58:61], off offset:1312
	v_add_co_u32_e32 v46, vcc, s4, v0
	v_addc_co_u32_e32 v47, vcc, 0, v1, vcc
	global_store_dwordx4 v[46:47], v[14:17], off offset:3936
	global_store_dwordx4 v[0:1], v[54:57], off offset:832
	;; [unrolled: 1-line block ×4, first 2 shown]
	v_fma_f64 v[138:139], v[175:176], 2.0, -v[134:135]
	v_add_co_u32_e32 v10, vcc, s5, v0
	v_addc_co_u32_e32 v11, vcc, 0, v1, vcc
	global_store_dwordx4 v[10:11], v[6:9], off offset:672
	global_store_dwordx4 v[0:1], v[142:145], off offset:1664
	;; [unrolled: 1-line block ×7, first 2 shown]
	v_lshlrev_b64 v[6:7], 4, v[116:117]
	v_mul_hi_u32 v8, v161, s6
	v_add_co_u32_e32 v6, vcc, v62, v6
	v_addc_co_u32_e32 v7, vcc, v63, v7, vcc
	global_store_dwordx4 v[6:7], v[22:25], off
	global_store_dwordx4 v[10:11], v[18:21], off offset:2336
	v_lshrrev_b32_e32 v6, 7, v8
	v_mul_u32_u24_e32 v116, 0x3f6, v6
	v_lshlrev_b64 v[6:7], 4, v[116:117]
	v_add_co_u32_e32 v6, vcc, v0, v6
	v_addc_co_u32_e32 v7, vcc, v1, v7, vcc
	v_add_co_u32_e32 v8, vcc, s1, v6
	v_addc_co_u32_e32 v9, vcc, 0, v7, vcc
	global_store_dwordx4 v[8:9], v[30:33], off offset:544
	v_add_co_u32_e32 v8, vcc, s4, v6
	v_addc_co_u32_e32 v9, vcc, 0, v7, vcc
	global_store_dwordx4 v[8:9], v[134:137], off offset:1856
	v_mul_hi_u32 v8, v160, s6
	global_store_dwordx4 v[6:7], v[138:141], off offset:3328
	v_add_co_u32_e32 v6, vcc, s5, v6
	v_addc_co_u32_e32 v7, vcc, 0, v7, vcc
	global_store_dwordx4 v[6:7], v[42:45], off offset:3168
	v_lshrrev_b32_e32 v6, 7, v8
	v_mad_u32_u24 v116, v6, s7, v160
	v_lshlrev_b64 v[6:7], 4, v[116:117]
	v_add_co_u32_e32 v6, vcc, v62, v6
	v_addc_co_u32_e32 v7, vcc, v63, v7, vcc
	v_add_co_u32_e32 v8, vcc, s0, v6
	v_addc_co_u32_e32 v9, vcc, 0, v7, vcc
	global_store_dwordx4 v[8:9], v[80:83], off offset:1312
	v_add_co_u32_e32 v8, vcc, 0x2000, v6
	v_addc_co_u32_e32 v9, vcc, 0, v7, vcc
	global_store_dwordx4 v[6:7], v[84:87], off
	v_add_co_u32_e32 v6, vcc, 0x3000, v6
	v_addc_co_u32_e32 v7, vcc, 0, v7, vcc
	global_store_dwordx4 v[8:9], v[38:41], off offset:2624
	global_store_dwordx4 v[6:7], v[34:37], off offset:3936
	s_and_b64 exec, exec, s[2:3]
	s_cbranch_execz .LBB0_18
; %bb.17:
	v_mul_i32_i24_e32 v116, 3, v168
	v_lshlrev_b64 v[6:7], 4, v[116:117]
	v_mov_b32_e32 v8, s9
	v_add_co_u32_e32 v6, vcc, s8, v6
	v_addc_co_u32_e32 v17, vcc, v8, v7, vcc
	v_add_co_u32_e32 v14, vcc, 0x1500, v6
	v_addc_co_u32_e32 v15, vcc, 0, v17, vcc
	;; [unrolled: 2-line block ×3, first 2 shown]
	global_load_dwordx4 v[6:9], v[14:15], off offset:32
	global_load_dwordx4 v[10:13], v[14:15], off offset:16
	v_add_co_u32_e32 v24, vcc, 0x3000, v0
	global_load_dwordx4 v[14:17], v[16:17], off offset:1280
	v_addc_co_u32_e32 v25, vcc, 0, v1, vcc
	v_add_co_u32_e32 v0, vcc, 0x5000, v0
	v_addc_co_u32_e32 v1, vcc, 0, v1, vcc
	s_waitcnt vmcnt(2)
	v_mul_f64 v[20:21], v[114:115], v[8:9]
	s_waitcnt vmcnt(1)
	v_mul_f64 v[18:19], v[112:113], v[12:13]
	v_mul_f64 v[12:13], v[100:101], v[12:13]
	;; [unrolled: 1-line block ×3, first 2 shown]
	s_waitcnt vmcnt(0)
	v_mul_f64 v[22:23], v[108:109], v[16:17]
	v_mul_f64 v[16:17], v[98:99], v[16:17]
	v_fma_f64 v[18:19], v[100:101], v[10:11], -v[18:19]
	v_fma_f64 v[10:11], v[112:113], v[10:11], v[12:13]
	v_fma_f64 v[12:13], v[102:103], v[6:7], -v[20:21]
	v_fma_f64 v[6:7], v[114:115], v[6:7], v[8:9]
	;; [unrolled: 2-line block ×3, first 2 shown]
	v_add_f64 v[16:17], v[96:97], -v[18:19]
	v_add_f64 v[18:19], v[110:111], -v[10:11]
	;; [unrolled: 1-line block ×4, first 2 shown]
	v_fma_f64 v[20:21], v[96:97], 2.0, -v[16:17]
	v_fma_f64 v[22:23], v[110:111], 2.0, -v[18:19]
	;; [unrolled: 1-line block ×4, first 2 shown]
	v_add_f64 v[6:7], v[16:17], -v[6:7]
	v_add_f64 v[8:9], v[18:19], v[10:11]
	v_add_f64 v[10:11], v[20:21], -v[12:13]
	v_add_f64 v[12:13], v[22:23], -v[14:15]
	v_fma_f64 v[14:15], v[16:17], 2.0, -v[6:7]
	v_fma_f64 v[16:17], v[18:19], 2.0, -v[8:9]
	;; [unrolled: 1-line block ×4, first 2 shown]
	global_store_dwordx4 v[4:5], v[14:17], off offset:2208
	global_store_dwordx4 v[24:25], v[10:13], off offset:3520
	global_store_dwordx4 v[2:3], v[18:21], off offset:896
	global_store_dwordx4 v[0:1], v[6:9], off offset:736
.LBB0_18:
	s_endpgm
	.section	.rodata,"a",@progbits
	.p2align	6, 0x0
	.amdhsa_kernel fft_rtc_fwd_len1352_factors_2_13_13_4_wgs_52_tpt_52_halfLds_dp_ip_CI_unitstride_sbrr_dirReg
		.amdhsa_group_segment_fixed_size 0
		.amdhsa_private_segment_fixed_size 0
		.amdhsa_kernarg_size 88
		.amdhsa_user_sgpr_count 6
		.amdhsa_user_sgpr_private_segment_buffer 1
		.amdhsa_user_sgpr_dispatch_ptr 0
		.amdhsa_user_sgpr_queue_ptr 0
		.amdhsa_user_sgpr_kernarg_segment_ptr 1
		.amdhsa_user_sgpr_dispatch_id 0
		.amdhsa_user_sgpr_flat_scratch_init 0
		.amdhsa_user_sgpr_private_segment_size 0
		.amdhsa_uses_dynamic_stack 0
		.amdhsa_system_sgpr_private_segment_wavefront_offset 0
		.amdhsa_system_sgpr_workgroup_id_x 1
		.amdhsa_system_sgpr_workgroup_id_y 0
		.amdhsa_system_sgpr_workgroup_id_z 0
		.amdhsa_system_sgpr_workgroup_info 0
		.amdhsa_system_vgpr_workitem_id 0
		.amdhsa_next_free_vgpr 230
		.amdhsa_next_free_sgpr 48
		.amdhsa_reserve_vcc 1
		.amdhsa_reserve_flat_scratch 0
		.amdhsa_float_round_mode_32 0
		.amdhsa_float_round_mode_16_64 0
		.amdhsa_float_denorm_mode_32 3
		.amdhsa_float_denorm_mode_16_64 3
		.amdhsa_dx10_clamp 1
		.amdhsa_ieee_mode 1
		.amdhsa_fp16_overflow 0
		.amdhsa_exception_fp_ieee_invalid_op 0
		.amdhsa_exception_fp_denorm_src 0
		.amdhsa_exception_fp_ieee_div_zero 0
		.amdhsa_exception_fp_ieee_overflow 0
		.amdhsa_exception_fp_ieee_underflow 0
		.amdhsa_exception_fp_ieee_inexact 0
		.amdhsa_exception_int_div_zero 0
	.end_amdhsa_kernel
	.text
.Lfunc_end0:
	.size	fft_rtc_fwd_len1352_factors_2_13_13_4_wgs_52_tpt_52_halfLds_dp_ip_CI_unitstride_sbrr_dirReg, .Lfunc_end0-fft_rtc_fwd_len1352_factors_2_13_13_4_wgs_52_tpt_52_halfLds_dp_ip_CI_unitstride_sbrr_dirReg
                                        ; -- End function
	.section	.AMDGPU.csdata,"",@progbits
; Kernel info:
; codeLenInByte = 21672
; NumSgprs: 52
; NumVgprs: 230
; ScratchSize: 0
; MemoryBound: 1
; FloatMode: 240
; IeeeMode: 1
; LDSByteSize: 0 bytes/workgroup (compile time only)
; SGPRBlocks: 6
; VGPRBlocks: 57
; NumSGPRsForWavesPerEU: 52
; NumVGPRsForWavesPerEU: 230
; Occupancy: 1
; WaveLimiterHint : 1
; COMPUTE_PGM_RSRC2:SCRATCH_EN: 0
; COMPUTE_PGM_RSRC2:USER_SGPR: 6
; COMPUTE_PGM_RSRC2:TRAP_HANDLER: 0
; COMPUTE_PGM_RSRC2:TGID_X_EN: 1
; COMPUTE_PGM_RSRC2:TGID_Y_EN: 0
; COMPUTE_PGM_RSRC2:TGID_Z_EN: 0
; COMPUTE_PGM_RSRC2:TIDIG_COMP_CNT: 0
	.type	__hip_cuid_40a1b29aef759082,@object ; @__hip_cuid_40a1b29aef759082
	.section	.bss,"aw",@nobits
	.globl	__hip_cuid_40a1b29aef759082
__hip_cuid_40a1b29aef759082:
	.byte	0                               ; 0x0
	.size	__hip_cuid_40a1b29aef759082, 1

	.ident	"AMD clang version 19.0.0git (https://github.com/RadeonOpenCompute/llvm-project roc-6.4.0 25133 c7fe45cf4b819c5991fe208aaa96edf142730f1d)"
	.section	".note.GNU-stack","",@progbits
	.addrsig
	.addrsig_sym __hip_cuid_40a1b29aef759082
	.amdgpu_metadata
---
amdhsa.kernels:
  - .args:
      - .actual_access:  read_only
        .address_space:  global
        .offset:         0
        .size:           8
        .value_kind:     global_buffer
      - .offset:         8
        .size:           8
        .value_kind:     by_value
      - .actual_access:  read_only
        .address_space:  global
        .offset:         16
        .size:           8
        .value_kind:     global_buffer
      - .actual_access:  read_only
        .address_space:  global
        .offset:         24
        .size:           8
        .value_kind:     global_buffer
      - .offset:         32
        .size:           8
        .value_kind:     by_value
      - .actual_access:  read_only
        .address_space:  global
        .offset:         40
        .size:           8
        .value_kind:     global_buffer
      - .actual_access:  read_only
        .address_space:  global
        .offset:         48
        .size:           8
        .value_kind:     global_buffer
      - .offset:         56
        .size:           4
        .value_kind:     by_value
      - .actual_access:  read_only
        .address_space:  global
        .offset:         64
        .size:           8
        .value_kind:     global_buffer
      - .actual_access:  read_only
        .address_space:  global
        .offset:         72
        .size:           8
        .value_kind:     global_buffer
      - .address_space:  global
        .offset:         80
        .size:           8
        .value_kind:     global_buffer
    .group_segment_fixed_size: 0
    .kernarg_segment_align: 8
    .kernarg_segment_size: 88
    .language:       OpenCL C
    .language_version:
      - 2
      - 0
    .max_flat_workgroup_size: 52
    .name:           fft_rtc_fwd_len1352_factors_2_13_13_4_wgs_52_tpt_52_halfLds_dp_ip_CI_unitstride_sbrr_dirReg
    .private_segment_fixed_size: 0
    .sgpr_count:     52
    .sgpr_spill_count: 0
    .symbol:         fft_rtc_fwd_len1352_factors_2_13_13_4_wgs_52_tpt_52_halfLds_dp_ip_CI_unitstride_sbrr_dirReg.kd
    .uniform_work_group_size: 1
    .uses_dynamic_stack: false
    .vgpr_count:     230
    .vgpr_spill_count: 0
    .wavefront_size: 64
amdhsa.target:   amdgcn-amd-amdhsa--gfx906
amdhsa.version:
  - 1
  - 2
...

	.end_amdgpu_metadata
